;; amdgpu-corpus repo=ROCm/rocFFT kind=compiled arch=gfx906 opt=O3
	.text
	.amdgcn_target "amdgcn-amd-amdhsa--gfx906"
	.amdhsa_code_object_version 6
	.protected	bluestein_single_back_len3125_dim1_sp_op_CI_CI ; -- Begin function bluestein_single_back_len3125_dim1_sp_op_CI_CI
	.globl	bluestein_single_back_len3125_dim1_sp_op_CI_CI
	.p2align	8
	.type	bluestein_single_back_len3125_dim1_sp_op_CI_CI,@function
bluestein_single_back_len3125_dim1_sp_op_CI_CI: ; @bluestein_single_back_len3125_dim1_sp_op_CI_CI
; %bb.0:
	s_load_dwordx4 s[12:15], s[4:5], 0x28
	s_mov_b64 s[26:27], s[2:3]
	v_mul_u32_u24_e32 v3, 0x20d, v0
	s_mov_b64 s[24:25], s[0:1]
	v_add_u32_sdwa v1, s6, v3 dst_sel:DWORD dst_unused:UNUSED_PAD src0_sel:DWORD src1_sel:WORD_1
	v_mov_b32_e32 v2, 0
	s_add_u32 s24, s24, s7
	s_waitcnt lgkmcnt(0)
	v_cmp_gt_u64_e32 vcc, s[12:13], v[1:2]
	s_addc_u32 s25, s25, 0
	s_and_saveexec_b64 s[0:1], vcc
	s_cbranch_execz .LBB0_2
; %bb.1:
	s_load_dwordx4 s[8:11], s[4:5], 0x0
	s_load_dwordx4 s[20:23], s[4:5], 0x18
	s_load_dwordx2 s[12:13], s[4:5], 0x38
	s_movk_i32 s16, 0x7d
	v_mul_lo_u16_sdwa v2, v3, s16 dst_sel:DWORD dst_unused:UNUSED_PAD src0_sel:WORD_1 src1_sel:DWORD
	v_sub_u16_e32 v126, v0, v2
	s_waitcnt lgkmcnt(0)
	s_load_dwordx4 s[0:3], s[22:23], 0x0
	v_lshlrev_b32_e32 v254, 3, v126
	v_add_u32_e32 v165, 0x1400, v254
	v_add_u32_e32 v166, 0x400, v254
	;; [unrolled: 1-line block ×3, first 2 shown]
	s_waitcnt lgkmcnt(0)
	v_mad_u64_u32 v[4:5], s[4:5], s2, v1, 0
	v_add_u32_e32 v36, 0x2c00, v254
	v_add_u32_e32 v40, 0x5400, v254
	v_mov_b32_e32 v0, v5
	v_mad_u64_u32 v[2:3], s[2:3], s3, v1, v[0:1]
	v_mov_b32_e32 v63, v36
	v_mov_b32_e32 v62, v40
	;; [unrolled: 1-line block ×3, first 2 shown]
	buffer_store_dword v4, off, s[24:27], 0 offset:88 ; 4-byte Folded Spill
	s_nop 0
	buffer_store_dword v5, off, s[24:27], 0 offset:92 ; 4-byte Folded Spill
	s_load_dwordx4 s[4:7], s[20:21], 0x0
	global_load_dwordx2 v[214:215], v254, s[8:9]
	v_mov_b32_e32 v122, v62
	v_mov_b32_e32 v123, v63
	;; [unrolled: 1-line block ×3, first 2 shown]
	s_waitcnt lgkmcnt(0)
	v_mad_u64_u32 v[2:3], s[2:3], s6, v1, 0
	s_mul_i32 s6, s4, 0x1388
	v_mov_b32_e32 v139, v123
	v_mov_b32_e32 v0, v3
	v_mad_u64_u32 v[0:1], s[2:3], s7, v1, v[0:1]
	s_movk_i32 s7, 0x2000
	v_mov_b32_e32 v138, v122
	v_mov_b32_e32 v3, v0
	v_mad_u64_u32 v[0:1], s[2:3], s4, v126, 0
	v_mov_b32_e32 v220, s11
	v_mov_b32_e32 v231, v138
	v_mad_u64_u32 v[4:5], s[2:3], s5, v126, v[1:2]
	v_lshlrev_b64 v[2:3], 3, v[2:3]
	s_mul_i32 s2, s5, 0x1388
	v_mov_b32_e32 v1, v4
	v_add_co_u32_e32 v2, vcc, s14, v2
	v_mov_b32_e32 v4, s15
	v_lshlrev_b64 v[0:1], 3, v[0:1]
	v_addc_co_u32_e32 v3, vcc, v4, v3, vcc
	v_add_co_u32_e32 v0, vcc, v2, v0
	v_addc_co_u32_e32 v1, vcc, v3, v1, vcc
	global_load_dwordx2 v[2:3], v[0:1], off
	v_add_co_u32_e32 v164, vcc, s8, v254
	v_mov_b32_e32 v4, s9
	s_mul_hi_u32 s3, s4, 0x1388
	v_addc_co_u32_e32 v167, vcc, 0, v4, vcc
	s_add_i32 s3, s3, s2
	v_add_co_u32_e32 v0, vcc, s6, v0
	s_movk_i32 s2, 0x1000
	s_mulk_i32 s5, 0xb5c8
	v_mov_b32_e32 v232, v139
                                        ; kill: killed $sgpr8_sgpr9
	s_waitcnt vmcnt(0)
	v_mul_f32_e32 v6, v3, v215
	v_fmac_f32_e32 v6, v2, v214
	v_mul_f32_e32 v2, v2, v215
	v_fma_f32 v7, v3, v214, -v2
	v_mov_b32_e32 v2, s3
	v_addc_co_u32_e32 v1, vcc, v1, v2, vcc
	v_add_co_u32_e32 v8, vcc, s2, v164
	v_addc_co_u32_e32 v9, vcc, 0, v167, vcc
	global_load_dwordx2 v[2:3], v[0:1], off
	global_load_dwordx2 v[212:213], v[8:9], off offset:904
	v_add_co_u32_e32 v0, vcc, s6, v0
                                        ; kill: killed $vgpr8 killed $vgpr9
	s_waitcnt vmcnt(0)
	v_mul_f32_e32 v4, v3, v213
	v_fmac_f32_e32 v4, v2, v212
	v_mul_f32_e32 v2, v2, v213
	v_fma_f32 v5, v3, v212, -v2
	v_mov_b32_e32 v2, s3
	v_addc_co_u32_e32 v1, vcc, v1, v2, vcc
	ds_write_b64 v254, v[4:5] offset:5000
	v_add_co_u32_e32 v4, vcc, s7, v164
	v_addc_co_u32_e32 v5, vcc, 0, v167, vcc
	global_load_dwordx2 v[2:3], v[0:1], off
	global_load_dwordx2 v[210:211], v[4:5], off offset:1808
	v_add_co_u32_e32 v0, vcc, s6, v0
	s_movk_i32 s7, 0x3000
                                        ; kill: killed $vgpr4 killed $vgpr5
	s_waitcnt vmcnt(0)
	v_mul_f32_e32 v10, v3, v211
	v_fmac_f32_e32 v10, v2, v210
	v_mul_f32_e32 v2, v2, v211
	v_fma_f32 v11, v3, v210, -v2
	v_mov_b32_e32 v2, s3
	v_addc_co_u32_e32 v1, vcc, v1, v2, vcc
	v_add_co_u32_e32 v2, vcc, s7, v164
	v_addc_co_u32_e32 v3, vcc, 0, v167, vcc
	ds_write_b64 v254, v[10:11] offset:10000
	global_load_dwordx2 v[10:11], v[0:1], off
	global_load_dwordx2 v[208:209], v[2:3], off offset:2712
	s_movk_i32 s7, 0x4000
                                        ; kill: killed $vgpr2 killed $vgpr3
	s_waitcnt vmcnt(0)
	v_mul_f32_e32 v12, v11, v209
	v_fmac_f32_e32 v12, v10, v208
	v_mul_f32_e32 v10, v10, v209
	v_fma_f32 v13, v11, v208, -v10
	v_add_co_u32_e32 v10, vcc, s6, v0
	v_mov_b32_e32 v0, s3
	v_addc_co_u32_e32 v11, vcc, v1, v0, vcc
	v_add_co_u32_e32 v0, vcc, s7, v164
	v_addc_co_u32_e32 v1, vcc, 0, v167, vcc
	ds_write_b64 v254, v[12:13] offset:15000
	global_load_dwordx2 v[12:13], v[10:11], off
	global_load_dwordx2 v[204:205], v[0:1], off offset:3616
	s_mul_hi_u32 s7, s4, 0xffffb5c8
	s_sub_i32 s7, s7, s4
	v_add_co_u32_e32 v216, vcc, s16, v126
	s_add_i32 s5, s7, s5
	s_mulk_i32 s4, 0xb5c8
	v_add_co_u32_e32 v10, vcc, s4, v10
	s_movk_i32 s7, 0x5000
                                        ; kill: killed $vgpr0 killed $vgpr1
	s_waitcnt vmcnt(0)
	v_mul_f32_e32 v14, v13, v205
	v_fmac_f32_e32 v14, v12, v204
	v_mul_f32_e32 v12, v12, v205
	v_fma_f32 v15, v13, v204, -v12
	v_mov_b32_e32 v12, s5
	ds_write_b64 v254, v[14:15] offset:20000
	v_addc_co_u32_e32 v11, vcc, v11, v12, vcc
	global_load_dwordx2 v[12:13], v[10:11], off
	global_load_dwordx2 v[202:203], v254, s[8:9] offset:1000
	s_waitcnt vmcnt(0)
	v_mul_f32_e32 v14, v13, v203
	v_fmac_f32_e32 v14, v12, v202
	v_mul_f32_e32 v12, v12, v203
	v_fma_f32 v15, v13, v202, -v12
	ds_write2_b64 v254, v[6:7], v[14:15] offset1:125
	v_add_co_u32_e32 v6, vcc, s6, v10
	v_mov_b32_e32 v7, s3
	v_addc_co_u32_e32 v7, vcc, v11, v7, vcc
	global_load_dwordx2 v[10:11], v[6:7], off
	global_load_dwordx2 v[200:201], v[8:9], off offset:1904
	v_add_co_u32_e32 v6, vcc, s6, v6
	s_waitcnt vmcnt(0)
	v_mul_f32_e32 v12, v11, v201
	v_fmac_f32_e32 v12, v10, v200
	v_mul_f32_e32 v10, v10, v201
	v_fma_f32 v13, v11, v200, -v10
	v_mov_b32_e32 v10, s3
	v_addc_co_u32_e32 v7, vcc, v7, v10, vcc
	global_load_dwordx2 v[10:11], v[6:7], off
	global_load_dwordx2 v[198:199], v[4:5], off offset:2808
	v_add_co_u32_e32 v6, vcc, s6, v6
	s_waitcnt vmcnt(0)
	v_mul_f32_e32 v14, v11, v199
	v_fmac_f32_e32 v14, v10, v198
	v_mul_f32_e32 v10, v10, v199
	v_fma_f32 v15, v11, v198, -v10
	v_mov_b32_e32 v10, s3
	v_addc_co_u32_e32 v7, vcc, v7, v10, vcc
	global_load_dwordx2 v[10:11], v[6:7], off
	global_load_dwordx2 v[194:195], v[2:3], off offset:3712
	s_waitcnt vmcnt(0)
	v_mul_f32_e32 v16, v11, v195
	v_fmac_f32_e32 v16, v10, v194
	v_mul_f32_e32 v10, v10, v195
	v_fma_f32 v17, v11, v194, -v10
	v_add_co_u32_e32 v10, vcc, s6, v6
	v_mov_b32_e32 v6, s3
	v_addc_co_u32_e32 v11, vcc, v7, v6, vcc
	v_add_co_u32_e32 v6, vcc, s7, v164
	v_addc_co_u32_e32 v7, vcc, 0, v167, vcc
	global_load_dwordx2 v[18:19], v[10:11], off
	global_load_dwordx2 v[192:193], v[6:7], off offset:520
	s_movk_i32 s7, 0xfa
	v_add_co_u32_e32 v217, vcc, s7, v126
	v_add_co_u32_e32 v10, vcc, s4, v10
	s_movk_i32 s7, 0x177
                                        ; kill: killed $vgpr6 killed $vgpr7
	s_waitcnt vmcnt(0)
	v_mul_f32_e32 v20, v19, v193
	v_fmac_f32_e32 v20, v18, v192
	v_mul_f32_e32 v18, v18, v193
	v_fma_f32 v21, v19, v192, -v18
	v_mov_b32_e32 v18, s5
	v_addc_co_u32_e32 v11, vcc, v11, v18, vcc
	global_load_dwordx2 v[18:19], v[10:11], off
	global_load_dwordx2 v[196:197], v254, s[8:9] offset:2000
	v_add_co_u32_e32 v10, vcc, s6, v10
	s_waitcnt vmcnt(0)
	v_mul_f32_e32 v22, v19, v197
	v_fmac_f32_e32 v22, v18, v196
	v_mul_f32_e32 v18, v18, v197
	v_fma_f32 v23, v19, v196, -v18
	v_mov_b32_e32 v18, s3
	v_addc_co_u32_e32 v11, vcc, v11, v18, vcc
	global_load_dwordx2 v[18:19], v[10:11], off
	global_load_dwordx2 v[190:191], v[8:9], off offset:2904
	v_add_co_u32_e32 v10, vcc, s6, v10
	s_waitcnt vmcnt(0)
	v_mul_f32_e32 v24, v19, v191
	v_fmac_f32_e32 v24, v18, v190
	v_mul_f32_e32 v18, v18, v191
	v_fma_f32 v25, v19, v190, -v18
	ds_write2_b64 v165, v[12:13], v[24:25] offset0:110 offset1:235
	v_mov_b32_e32 v12, s3
	v_addc_co_u32_e32 v11, vcc, v11, v12, vcc
	global_load_dwordx2 v[12:13], v[10:11], off
	global_load_dwordx2 v[188:189], v[4:5], off offset:3808
	v_add_co_u32_e32 v10, vcc, s6, v10
	s_waitcnt vmcnt(0)
	v_mul_f32_e32 v18, v13, v189
	v_fmac_f32_e32 v18, v12, v188
	v_mul_f32_e32 v12, v12, v189
	v_fma_f32 v19, v13, v188, -v12
	v_add_u32_e32 v12, 0x2800, v254
	ds_write2_b64 v12, v[14:15], v[18:19] offset0:95 offset1:220
	v_mov_b32_e32 v12, s3
	v_addc_co_u32_e32 v11, vcc, v11, v12, vcc
	global_load_dwordx2 v[12:13], v[10:11], off
	global_load_dwordx2 v[18:19], v[0:1], off offset:616
	v_add_co_u32_e32 v10, vcc, s6, v10
	s_waitcnt vmcnt(0)
	buffer_store_dword v18, off, s[24:27], 0 offset:64 ; 4-byte Folded Spill
	s_nop 0
	buffer_store_dword v19, off, s[24:27], 0 offset:68 ; 4-byte Folded Spill
	v_mul_f32_e32 v14, v13, v19
	v_fmac_f32_e32 v14, v12, v18
	v_mul_f32_e32 v12, v12, v19
	v_fma_f32 v15, v13, v18, -v12
	v_add_u32_e32 v12, 0x3c00, v254
	ds_write2_b64 v12, v[16:17], v[14:15] offset0:80 offset1:205
	v_mov_b32_e32 v206, v12
	v_mov_b32_e32 v12, s3
	v_addc_co_u32_e32 v11, vcc, v11, v12, vcc
	global_load_dwordx2 v[12:13], v[10:11], off
	global_load_dwordx2 v[15:16], v[6:7], off offset:1520
	v_add_co_u32_e32 v218, vcc, s7, v126
	s_waitcnt vmcnt(0)
	buffer_store_dword v15, off, s[24:27], 0 offset:48 ; 4-byte Folded Spill
	s_nop 0
	buffer_store_dword v16, off, s[24:27], 0 offset:52 ; 4-byte Folded Spill
	v_add_co_u32_e32 v10, vcc, s4, v10
	s_movk_i32 s7, 0x1f4
	v_mul_f32_e32 v14, v13, v16
	v_fmac_f32_e32 v14, v12, v15
	v_mul_f32_e32 v12, v12, v16
	v_fma_f32 v15, v13, v15, -v12
	v_add_u32_e32 v12, 0x5000, v254
	ds_write2_b64 v12, v[20:21], v[14:15] offset0:65 offset1:190
	v_mov_b32_e32 v12, s5
	v_addc_co_u32_e32 v11, vcc, v11, v12, vcc
	global_load_dwordx2 v[12:13], v[10:11], off
	global_load_dwordx2 v[15:16], v254, s[8:9] offset:3000
	s_waitcnt vmcnt(0)
	buffer_store_dword v15, off, s[24:27], 0 offset:80 ; 4-byte Folded Spill
	s_nop 0
	buffer_store_dword v16, off, s[24:27], 0 offset:84 ; 4-byte Folded Spill
	v_add_co_u32_e32 v10, vcc, s6, v10
	v_mul_f32_e32 v14, v13, v16
	v_fmac_f32_e32 v14, v12, v15
	v_mul_f32_e32 v12, v12, v16
	v_fma_f32 v15, v13, v15, -v12
	v_mov_b32_e32 v12, s3
	ds_write2_b64 v166, v[22:23], v[14:15] offset0:122 offset1:247
	v_addc_co_u32_e32 v11, vcc, v11, v12, vcc
	global_load_dwordx2 v[12:13], v[10:11], off
	global_load_dwordx2 v[14:15], v[8:9], off offset:3904
	s_waitcnt vmcnt(0)
	buffer_store_dword v14, off, s[24:27], 0 offset:72 ; 4-byte Folded Spill
	s_nop 0
	buffer_store_dword v15, off, s[24:27], 0 offset:76 ; 4-byte Folded Spill
	v_add_co_u32_e32 v10, vcc, s6, v10
	v_mul_f32_e32 v8, v13, v15
	v_fmac_f32_e32 v8, v12, v14
	v_mul_f32_e32 v9, v12, v15
	v_mov_b32_e32 v12, s3
	v_addc_co_u32_e32 v11, vcc, v11, v12, vcc
	v_fma_f32 v9, v13, v14, -v9
	global_load_dwordx2 v[12:13], v[10:11], off
	global_load_dwordx2 v[15:16], v[2:3], off offset:712
	s_waitcnt vmcnt(0)
	buffer_store_dword v15, off, s[24:27], 0 offset:56 ; 4-byte Folded Spill
	s_nop 0
	buffer_store_dword v16, off, s[24:27], 0 offset:60 ; 4-byte Folded Spill
	v_add_co_u32_e32 v10, vcc, s6, v10
	v_mul_f32_e32 v14, v13, v16
	v_fmac_f32_e32 v14, v12, v15
	v_mul_f32_e32 v12, v12, v16
	v_fma_f32 v15, v13, v15, -v12
	v_mov_b32_e32 v12, s3
	v_addc_co_u32_e32 v11, vcc, v11, v12, vcc
	global_load_dwordx2 v[12:13], v[10:11], off
	global_load_dwordx2 v[17:18], v[0:1], off offset:1616
	s_waitcnt vmcnt(0)
	buffer_store_dword v17, off, s[24:27], 0 offset:40 ; 4-byte Folded Spill
	s_nop 0
	buffer_store_dword v18, off, s[24:27], 0 offset:44 ; 4-byte Folded Spill
	v_add_co_u32_e32 v10, vcc, s6, v10
	v_mul_f32_e32 v16, v13, v18
	v_fmac_f32_e32 v16, v12, v17
	v_mul_f32_e32 v12, v12, v18
	v_fma_f32 v17, v13, v17, -v12
	v_mov_b32_e32 v12, s3
	v_addc_co_u32_e32 v11, vcc, v11, v12, vcc
	global_load_dwordx2 v[12:13], v[10:11], off
	global_load_dwordx2 v[19:20], v[6:7], off offset:2520
	s_waitcnt vmcnt(0)
	buffer_store_dword v19, off, s[24:27], 0 offset:8 ; 4-byte Folded Spill
	s_nop 0
	buffer_store_dword v20, off, s[24:27], 0 offset:12 ; 4-byte Folded Spill
	v_add_co_u32_e32 v219, vcc, s7, v126
	v_add_co_u32_e32 v10, vcc, s4, v10
	v_mul_f32_e32 v18, v13, v20
	v_fmac_f32_e32 v18, v12, v19
	v_mul_f32_e32 v12, v12, v20
	v_fma_f32 v19, v13, v19, -v12
	v_mov_b32_e32 v12, s5
	v_addc_co_u32_e32 v11, vcc, v11, v12, vcc
	global_load_dwordx2 v[12:13], v[10:11], off
	global_load_dwordx2 v[21:22], v254, s[8:9] offset:4000
	s_waitcnt vmcnt(0)
	buffer_store_dword v21, off, s[24:27], 0 ; 4-byte Folded Spill
	s_nop 0
	buffer_store_dword v22, off, s[24:27], 0 offset:4 ; 4-byte Folded Spill
	v_add_co_u32_e32 v10, vcc, s6, v10
	v_mul_f32_e32 v20, v13, v22
	v_fmac_f32_e32 v20, v12, v21
	v_mul_f32_e32 v12, v12, v22
	v_fma_f32 v21, v13, v21, -v12
	v_mov_b32_e32 v12, s3
	ds_write_b64 v254, v[20:21] offset:4000
	v_addc_co_u32_e32 v11, vcc, v11, v12, vcc
	global_load_dwordx2 v[12:13], v[10:11], off
	global_load_dwordx2 v[20:21], v[4:5], off offset:808
	s_waitcnt vmcnt(0)
	buffer_store_dword v20, off, s[24:27], 0 offset:32 ; 4-byte Folded Spill
	s_nop 0
	buffer_store_dword v21, off, s[24:27], 0 offset:36 ; 4-byte Folded Spill
	v_mul_f32_e32 v4, v13, v21
	v_mul_f32_e32 v5, v12, v21
	v_fmac_f32_e32 v4, v12, v20
	v_fma_f32 v5, v13, v20, -v5
	ds_write2_b64 v207, v[8:9], v[4:5] offset0:104 offset1:229
	v_add_co_u32_e32 v4, vcc, s6, v10
	v_mov_b32_e32 v5, s3
	v_addc_co_u32_e32 v5, vcc, v11, v5, vcc
	global_load_dwordx2 v[8:9], v[4:5], off
	global_load_dwordx2 v[10:11], v[2:3], off offset:1712
	s_waitcnt vmcnt(0)
	buffer_store_dword v10, off, s[24:27], 0 offset:24 ; 4-byte Folded Spill
	s_nop 0
	buffer_store_dword v11, off, s[24:27], 0 offset:28 ; 4-byte Folded Spill
	v_add_u32_e32 v12, 0x2400, v254
	v_mov_b32_e32 v58, v12
	v_add_u32_e32 v20, 0x4c00, v254
	v_mov_b32_e32 v60, v20
	v_mov_b32_e32 v127, v58
	;; [unrolled: 1-line block ×7, first 2 shown]
	v_mul_f32_e32 v2, v9, v11
	v_mul_f32_e32 v3, v8, v11
	v_fmac_f32_e32 v2, v8, v10
	v_fma_f32 v3, v9, v10, -v3
	v_add_u32_e32 v8, 0x3000, v254
	ds_write2_b64 v8, v[14:15], v[2:3] offset0:89 offset1:214
	v_add_co_u32_e32 v2, vcc, s6, v4
	v_mov_b32_e32 v3, s3
	v_addc_co_u32_e32 v3, vcc, v5, v3, vcc
	global_load_dwordx2 v[4:5], v[2:3], off
	global_load_dwordx2 v[8:9], v[0:1], off offset:2616
	s_waitcnt vmcnt(0)
	buffer_store_dword v8, off, s[24:27], 0 offset:16 ; 4-byte Folded Spill
	s_nop 0
	buffer_store_dword v9, off, s[24:27], 0 offset:20 ; 4-byte Folded Spill
	v_mul_f32_e32 v0, v5, v9
	v_mul_f32_e32 v1, v4, v9
	v_fmac_f32_e32 v0, v4, v8
	v_fma_f32 v1, v5, v8, -v1
	v_add_u32_e32 v4, 0x4400, v254
	ds_write2_b64 v4, v[16:17], v[0:1] offset0:74 offset1:199
	v_add_co_u32_e32 v0, vcc, s6, v2
	v_mov_b32_e32 v1, s3
	v_addc_co_u32_e32 v1, vcc, v3, v1, vcc
	v_mov_b32_e32 v48, v4
	global_load_dwordx2 v[2:3], v[0:1], off
	global_load_dwordx2 v[4:5], v[6:7], off offset:3520
	s_waitcnt vmcnt(0)
	buffer_store_dword v4, off, s[24:27], 0 offset:96 ; 4-byte Folded Spill
	s_nop 0
	buffer_store_dword v5, off, s[24:27], 0 offset:100 ; 4-byte Folded Spill
                                        ; kill: killed $vgpr0 killed $vgpr1
	v_add_u32_e32 v8, 0xc00, v254
	v_add_u32_e32 v16, 0x3400, v254
	v_mov_b32_e32 v236, v8
	v_mov_b32_e32 v59, v16
	;; [unrolled: 1-line block ×3, first 2 shown]
	s_movk_i32 s3, 0xcd
	v_mov_b32_e32 v125, v59
	v_mov_b32_e32 v128, v61
	;; [unrolled: 1-line block ×7, first 2 shown]
	s_mul_hi_u32 s6, s0, 0xffffb5c8
	s_sub_i32 s6, s6, s0
	v_mul_f32_e32 v0, v3, v5
	v_mul_f32_e32 v1, v2, v5
	v_fmac_f32_e32 v0, v2, v4
	v_fma_f32 v1, v3, v4, -v1
	v_add_u32_e32 v2, 0x5800, v254
	ds_write2_b64 v2, v[18:19], v[0:1] offset0:59 offset1:184
	s_waitcnt vmcnt(0) lgkmcnt(0)
	s_barrier
	ds_read2_b64 v[0:3], v8 offset0:116 offset1:241
	ds_read2_b64 v[8:11], v12 offset0:98 offset1:223
	;; [unrolled: 1-line block ×3, first 2 shown]
	ds_read2_b64 v[4:7], v254 offset1:125
	ds_read2_b64 v[16:19], v20 offset0:68 offset1:193
	ds_read2_b64 v[20:23], v165 offset0:110 offset1:235
	;; [unrolled: 1-line block ×4, first 2 shown]
	s_waitcnt lgkmcnt(6)
	v_sub_f32_e32 v55, v2, v8
	s_waitcnt lgkmcnt(5)
	v_add_f32_e32 v51, v8, v14
	s_waitcnt lgkmcnt(4)
	v_fma_f32 v52, -0.5, v51, v4
	s_waitcnt lgkmcnt(3)
	v_sub_f32_e32 v51, v3, v17
	v_mov_b32_e32 v54, v52
	v_fmac_f32_e32 v54, 0x3f737871, v51
	v_sub_f32_e32 v53, v9, v15
	v_sub_f32_e32 v56, v16, v14
	v_fmac_f32_e32 v52, 0xbf737871, v51
	v_fmac_f32_e32 v54, 0x3f167918, v53
	v_add_f32_e32 v55, v55, v56
	v_fmac_f32_e32 v52, 0xbf167918, v53
	v_fmac_f32_e32 v54, 0x3e9e377a, v55
	;; [unrolled: 1-line block ×3, first 2 shown]
	v_add_f32_e32 v55, v2, v16
	v_add_f32_e32 v50, v4, v2
	v_fma_f32 v4, -0.5, v55, v4
	v_mov_b32_e32 v56, v4
	v_fmac_f32_e32 v56, 0xbf737871, v53
	v_sub_f32_e32 v55, v8, v2
	v_sub_f32_e32 v57, v14, v16
	v_fmac_f32_e32 v4, 0x3f737871, v53
	v_add_f32_e32 v53, v9, v15
	v_add_f32_e32 v50, v50, v8
	v_fmac_f32_e32 v56, 0x3f167918, v51
	v_add_f32_e32 v55, v55, v57
	v_fmac_f32_e32 v4, 0xbf167918, v51
	v_fma_f32 v53, -0.5, v53, v5
	v_add_f32_e32 v50, v50, v14
	v_fmac_f32_e32 v56, 0x3e9e377a, v55
	v_fmac_f32_e32 v4, 0x3e9e377a, v55
	v_sub_f32_e32 v2, v2, v16
	v_mov_b32_e32 v55, v53
	v_add_f32_e32 v50, v50, v16
	v_fmac_f32_e32 v55, 0xbf737871, v2
	v_sub_f32_e32 v8, v8, v14
	v_sub_f32_e32 v14, v3, v9
	;; [unrolled: 1-line block ×3, first 2 shown]
	v_fmac_f32_e32 v53, 0x3f737871, v2
	v_fmac_f32_e32 v55, 0xbf167918, v8
	v_add_f32_e32 v14, v14, v16
	v_fmac_f32_e32 v53, 0x3f167918, v8
	v_fmac_f32_e32 v55, 0x3e9e377a, v14
	;; [unrolled: 1-line block ×3, first 2 shown]
	v_add_f32_e32 v14, v3, v17
	v_add_f32_e32 v51, v5, v3
	v_fma_f32 v5, -0.5, v14, v5
	v_mov_b32_e32 v57, v5
	v_add_f32_e32 v51, v51, v9
	v_fmac_f32_e32 v57, 0x3f737871, v8
	v_sub_f32_e32 v3, v9, v3
	v_sub_f32_e32 v9, v15, v17
	v_fmac_f32_e32 v5, 0xbf737871, v8
	v_fmac_f32_e32 v57, 0xbf167918, v2
	v_add_f32_e32 v3, v3, v9
	v_fmac_f32_e32 v5, 0x3f167918, v2
	v_fmac_f32_e32 v57, 0x3e9e377a, v3
	;; [unrolled: 1-line block ×3, first 2 shown]
	s_waitcnt lgkmcnt(1)
	v_add_f32_e32 v3, v10, v24
	v_fma_f32 v8, -0.5, v3, v6
	v_sub_f32_e32 v3, v21, v19
	v_mov_b32_e32 v14, v8
	v_add_f32_e32 v51, v51, v15
	v_fmac_f32_e32 v14, 0x3f737871, v3
	v_sub_f32_e32 v9, v11, v25
	v_sub_f32_e32 v15, v20, v10
	;; [unrolled: 1-line block ×3, first 2 shown]
	v_fmac_f32_e32 v8, 0xbf737871, v3
	v_fmac_f32_e32 v14, 0x3f167918, v9
	v_add_f32_e32 v15, v15, v16
	v_fmac_f32_e32 v8, 0xbf167918, v9
	v_fmac_f32_e32 v14, 0x3e9e377a, v15
	;; [unrolled: 1-line block ×3, first 2 shown]
	v_add_f32_e32 v15, v20, v18
	v_add_f32_e32 v2, v6, v20
	v_fma_f32 v6, -0.5, v15, v6
	v_mov_b32_e32 v16, v6
	v_add_f32_e32 v51, v51, v17
	v_add_f32_e32 v2, v2, v10
	v_fmac_f32_e32 v16, 0xbf737871, v9
	v_sub_f32_e32 v15, v10, v20
	v_sub_f32_e32 v17, v24, v18
	v_fmac_f32_e32 v6, 0x3f737871, v9
	v_add_f32_e32 v9, v11, v25
	v_add_f32_e32 v2, v2, v24
	v_fmac_f32_e32 v16, 0x3f167918, v3
	v_add_f32_e32 v15, v15, v17
	v_fmac_f32_e32 v6, 0xbf167918, v3
	v_fma_f32 v9, -0.5, v9, v7
	v_add_f32_e32 v2, v2, v18
	v_fmac_f32_e32 v16, 0x3e9e377a, v15
	v_fmac_f32_e32 v6, 0x3e9e377a, v15
	v_sub_f32_e32 v18, v20, v18
	v_mov_b32_e32 v15, v9
	v_fmac_f32_e32 v15, 0xbf737871, v18
	v_sub_f32_e32 v10, v10, v24
	v_sub_f32_e32 v17, v21, v11
	;; [unrolled: 1-line block ×3, first 2 shown]
	v_fmac_f32_e32 v9, 0x3f737871, v18
	v_fmac_f32_e32 v15, 0xbf167918, v10
	v_add_f32_e32 v17, v17, v20
	v_fmac_f32_e32 v9, 0x3f167918, v10
	ds_read2_b64 v[32:35], v36 offset0:92 offset1:217
	v_add_f32_e32 v3, v7, v21
	v_fmac_f32_e32 v15, 0x3e9e377a, v17
	v_fmac_f32_e32 v9, 0x3e9e377a, v17
	v_add_f32_e32 v17, v21, v19
	v_add_f32_e32 v3, v3, v11
	v_fmac_f32_e32 v7, -0.5, v17
	ds_read2_b64 v[36:39], v40 offset0:62 offset1:187
	v_add_f32_e32 v3, v3, v25
	v_mov_b32_e32 v17, v7
	v_add_f32_e32 v3, v3, v19
	v_fmac_f32_e32 v17, 0x3f737871, v10
	v_sub_f32_e32 v11, v11, v21
	v_sub_f32_e32 v19, v25, v19
	v_fmac_f32_e32 v7, 0xbf737871, v10
	v_fmac_f32_e32 v17, 0xbf167918, v18
	v_add_f32_e32 v11, v11, v19
	v_fmac_f32_e32 v7, 0x3f167918, v18
	v_fmac_f32_e32 v17, 0x3e9e377a, v11
	;; [unrolled: 1-line block ×3, first 2 shown]
	s_waitcnt lgkmcnt(1)
	v_add_f32_e32 v11, v32, v26
	v_fma_f32 v18, -0.5, v11, v28
	s_waitcnt lgkmcnt(0)
	v_sub_f32_e32 v11, v23, v37
	v_mov_b32_e32 v20, v18
	v_fmac_f32_e32 v20, 0x3f737871, v11
	v_sub_f32_e32 v19, v33, v27
	v_sub_f32_e32 v21, v22, v32
	;; [unrolled: 1-line block ×3, first 2 shown]
	v_fmac_f32_e32 v18, 0xbf737871, v11
	v_fmac_f32_e32 v20, 0x3f167918, v19
	v_add_f32_e32 v21, v21, v24
	v_fmac_f32_e32 v18, 0xbf167918, v19
	v_fmac_f32_e32 v20, 0x3e9e377a, v21
	v_fmac_f32_e32 v18, 0x3e9e377a, v21
	v_add_f32_e32 v21, v22, v36
	v_fma_f32 v24, -0.5, v21, v28
	v_add_f32_e32 v10, v28, v22
	v_mov_b32_e32 v28, v24
	v_fmac_f32_e32 v28, 0xbf737871, v19
	v_sub_f32_e32 v21, v32, v22
	v_sub_f32_e32 v25, v26, v36
	v_fmac_f32_e32 v24, 0x3f737871, v19
	v_add_f32_e32 v19, v33, v27
	v_fmac_f32_e32 v28, 0x3f167918, v11
	v_add_f32_e32 v21, v21, v25
	v_fmac_f32_e32 v24, 0xbf167918, v11
	v_fma_f32 v19, -0.5, v19, v29
	v_add_f32_e32 v10, v10, v32
	v_fmac_f32_e32 v28, 0x3e9e377a, v21
	v_fmac_f32_e32 v24, 0x3e9e377a, v21
	v_sub_f32_e32 v22, v22, v36
	v_mov_b32_e32 v21, v19
	v_add_f32_e32 v10, v10, v26
	v_fmac_f32_e32 v21, 0xbf737871, v22
	v_sub_f32_e32 v26, v32, v26
	v_sub_f32_e32 v25, v23, v33
	;; [unrolled: 1-line block ×3, first 2 shown]
	v_fmac_f32_e32 v19, 0x3f737871, v22
	v_fmac_f32_e32 v21, 0xbf167918, v26
	v_add_f32_e32 v25, v25, v32
	v_fmac_f32_e32 v19, 0x3f167918, v26
	ds_read2_b64 v[40:43], v207 offset0:104 offset1:229
	ds_read2_b64 v[44:47], v48 offset0:74 offset1:199
	v_fmac_f32_e32 v21, 0x3e9e377a, v25
	v_fmac_f32_e32 v19, 0x3e9e377a, v25
	v_add_f32_e32 v25, v23, v37
	v_add_f32_e32 v11, v29, v23
	v_fma_f32 v25, -0.5, v25, v29
	v_add_f32_e32 v11, v11, v33
	v_mov_b32_e32 v29, v25
	v_add_f32_e32 v11, v11, v27
	v_fmac_f32_e32 v29, 0x3f737871, v26
	v_sub_f32_e32 v23, v33, v23
	v_sub_f32_e32 v27, v27, v37
	v_fmac_f32_e32 v25, 0xbf737871, v26
	v_fmac_f32_e32 v29, 0xbf167918, v22
	v_add_f32_e32 v23, v23, v27
	v_fmac_f32_e32 v25, 0x3f167918, v22
	v_fmac_f32_e32 v29, 0x3e9e377a, v23
	;; [unrolled: 1-line block ×3, first 2 shown]
	s_waitcnt lgkmcnt(0)
	v_add_f32_e32 v23, v34, v44
	v_fma_f32 v26, -0.5, v23, v30
	v_sub_f32_e32 v23, v41, v39
	v_mov_b32_e32 v32, v26
	v_add_f32_e32 v10, v10, v36
	v_fmac_f32_e32 v32, 0x3f737871, v23
	v_sub_f32_e32 v27, v35, v45
	v_sub_f32_e32 v33, v40, v34
	;; [unrolled: 1-line block ×3, first 2 shown]
	v_fmac_f32_e32 v26, 0xbf737871, v23
	v_fmac_f32_e32 v32, 0x3f167918, v27
	v_add_f32_e32 v33, v33, v36
	v_fmac_f32_e32 v26, 0xbf167918, v27
	v_fmac_f32_e32 v32, 0x3e9e377a, v33
	;; [unrolled: 1-line block ×3, first 2 shown]
	v_add_f32_e32 v33, v40, v38
	v_add_f32_e32 v22, v30, v40
	v_fma_f32 v30, -0.5, v33, v30
	v_mov_b32_e32 v36, v30
	v_add_f32_e32 v11, v11, v37
	v_add_f32_e32 v22, v22, v34
	v_fmac_f32_e32 v36, 0xbf737871, v27
	v_sub_f32_e32 v33, v34, v40
	v_sub_f32_e32 v37, v44, v38
	v_fmac_f32_e32 v30, 0x3f737871, v27
	v_add_f32_e32 v27, v35, v45
	v_add_f32_e32 v22, v22, v44
	v_fmac_f32_e32 v36, 0x3f167918, v23
	v_add_f32_e32 v33, v33, v37
	v_fmac_f32_e32 v30, 0xbf167918, v23
	v_fma_f32 v27, -0.5, v27, v31
	v_add_f32_e32 v22, v22, v38
	v_fmac_f32_e32 v36, 0x3e9e377a, v33
	v_fmac_f32_e32 v30, 0x3e9e377a, v33
	v_sub_f32_e32 v38, v40, v38
	v_mov_b32_e32 v33, v27
	v_fmac_f32_e32 v33, 0xbf737871, v38
	v_sub_f32_e32 v34, v34, v44
	v_sub_f32_e32 v37, v41, v35
	;; [unrolled: 1-line block ×3, first 2 shown]
	v_fmac_f32_e32 v27, 0x3f737871, v38
	v_fmac_f32_e32 v33, 0xbf167918, v34
	v_add_f32_e32 v37, v37, v40
	v_fmac_f32_e32 v27, 0x3f167918, v34
	v_add_f32_e32 v23, v31, v41
	v_fmac_f32_e32 v33, 0x3e9e377a, v37
	v_fmac_f32_e32 v27, 0x3e9e377a, v37
	v_add_f32_e32 v37, v41, v39
	v_add_f32_e32 v23, v23, v35
	v_fmac_f32_e32 v31, -0.5, v37
	ds_read_b64 v[48:49], v254 offset:24000
	v_add_f32_e32 v23, v23, v45
	v_mov_b32_e32 v37, v31
	v_add_f32_e32 v23, v23, v39
	v_fmac_f32_e32 v37, 0x3f737871, v34
	v_sub_f32_e32 v35, v35, v41
	v_sub_f32_e32 v39, v45, v39
	v_fmac_f32_e32 v31, 0xbf737871, v34
	v_fmac_f32_e32 v37, 0xbf167918, v38
	v_add_f32_e32 v35, v35, v39
	v_fmac_f32_e32 v31, 0x3f167918, v38
	v_fmac_f32_e32 v37, 0x3e9e377a, v35
	;; [unrolled: 1-line block ×3, first 2 shown]
	v_add_f32_e32 v35, v12, v46
	v_fma_f32 v38, -0.5, v35, v0
	s_waitcnt lgkmcnt(0)
	v_sub_f32_e32 v35, v43, v49
	v_mov_b32_e32 v40, v38
	v_fmac_f32_e32 v40, 0x3f737871, v35
	v_sub_f32_e32 v39, v13, v47
	v_sub_f32_e32 v41, v42, v12
	;; [unrolled: 1-line block ×3, first 2 shown]
	v_fmac_f32_e32 v38, 0xbf737871, v35
	v_fmac_f32_e32 v40, 0x3f167918, v39
	v_add_f32_e32 v41, v41, v44
	v_fmac_f32_e32 v38, 0xbf167918, v39
	v_fmac_f32_e32 v40, 0x3e9e377a, v41
	;; [unrolled: 1-line block ×3, first 2 shown]
	v_add_f32_e32 v41, v42, v48
	v_add_f32_e32 v34, v0, v42
	v_fma_f32 v0, -0.5, v41, v0
	v_mov_b32_e32 v44, v0
	v_fmac_f32_e32 v44, 0xbf737871, v39
	v_sub_f32_e32 v41, v12, v42
	v_sub_f32_e32 v45, v46, v48
	v_fmac_f32_e32 v0, 0x3f737871, v39
	v_add_f32_e32 v39, v13, v47
	v_fmac_f32_e32 v44, 0x3f167918, v35
	v_add_f32_e32 v41, v41, v45
	v_fmac_f32_e32 v0, 0xbf167918, v35
	v_fma_f32 v39, -0.5, v39, v1
	v_add_f32_e32 v34, v34, v12
	v_fmac_f32_e32 v44, 0x3e9e377a, v41
	v_fmac_f32_e32 v0, 0x3e9e377a, v41
	v_sub_f32_e32 v42, v42, v48
	v_mov_b32_e32 v41, v39
	v_add_f32_e32 v34, v34, v46
	v_fmac_f32_e32 v41, 0xbf737871, v42
	v_sub_f32_e32 v12, v12, v46
	v_sub_f32_e32 v45, v43, v13
	;; [unrolled: 1-line block ×3, first 2 shown]
	v_fmac_f32_e32 v39, 0x3f737871, v42
	v_fmac_f32_e32 v41, 0xbf167918, v12
	v_add_f32_e32 v45, v45, v46
	v_fmac_f32_e32 v39, 0x3f167918, v12
	v_fmac_f32_e32 v41, 0x3e9e377a, v45
	;; [unrolled: 1-line block ×3, first 2 shown]
	v_add_f32_e32 v45, v43, v49
	v_add_f32_e32 v35, v1, v43
	v_fmac_f32_e32 v1, -0.5, v45
	v_mov_b32_e32 v45, v1
	v_fmac_f32_e32 v45, 0x3f737871, v12
	v_fmac_f32_e32 v1, 0xbf737871, v12
	v_mul_lo_u16_e32 v12, 5, v126
	v_lshlrev_b32_e32 v12, 3, v12
	s_barrier
	buffer_store_dword v12, off, s[24:27], 0 offset:164 ; 4-byte Folded Spill
	ds_write2_b64 v12, v[50:51], v[54:55] offset1:1
	ds_write2_b64 v12, v[56:57], v[4:5] offset0:2 offset1:3
	ds_write_b64 v12, v[52:53] offset:32
	v_mul_u32_u24_e32 v4, 5, v216
	v_lshlrev_b32_e32 v4, 3, v4
	v_add_f32_e32 v35, v35, v13
	v_sub_f32_e32 v13, v13, v43
	v_sub_f32_e32 v43, v47, v49
	buffer_store_dword v4, off, s[24:27], 0 offset:160 ; 4-byte Folded Spill
	ds_write2_b64 v4, v[2:3], v[14:15] offset1:1
	ds_write2_b64 v4, v[16:17], v[6:7] offset0:2 offset1:3
	ds_write_b64 v4, v[8:9] offset:32
	v_mul_u32_u24_e32 v2, 5, v217
	v_mul_lo_u16_sdwa v12, v126, s3 dst_sel:DWORD dst_unused:UNUSED_PAD src0_sel:BYTE_0 src1_sel:DWORD
	v_fmac_f32_e32 v45, 0xbf167918, v42
	v_add_f32_e32 v13, v13, v43
	v_fmac_f32_e32 v1, 0x3f167918, v42
	v_lshlrev_b32_e32 v2, 3, v2
	v_lshrrev_b16_e32 v12, 10, v12
	v_fmac_f32_e32 v45, 0x3e9e377a, v13
	v_fmac_f32_e32 v1, 0x3e9e377a, v13
	buffer_store_dword v2, off, s[24:27], 0 offset:156 ; 4-byte Folded Spill
	ds_write2_b64 v2, v[10:11], v[20:21] offset1:1
	ds_write2_b64 v2, v[28:29], v[24:25] offset0:2 offset1:3
	ds_write_b64 v2, v[18:19] offset:32
	v_mul_u32_u24_e32 v2, 5, v218
	v_mul_lo_u16_e32 v13, 5, v12
	v_lshlrev_b32_e32 v2, 3, v2
	v_sub_u16_e32 v13, v126, v13
	v_add_f32_e32 v35, v35, v47
	buffer_store_dword v2, off, s[24:27], 0 offset:152 ; 4-byte Folded Spill
	ds_write2_b64 v2, v[22:23], v[32:33] offset1:1
	ds_write2_b64 v2, v[36:37], v[30:31] offset0:2 offset1:3
	ds_write_b64 v2, v[26:27] offset:32
	v_mul_u32_u24_e32 v2, 5, v219
	v_and_b32_e32 v13, 0xff, v13
	v_add_f32_e32 v34, v34, v48
	v_add_f32_e32 v35, v35, v49
	v_lshlrev_b32_e32 v2, 3, v2
	v_lshlrev_b32_e32 v30, 5, v13
	buffer_store_dword v2, off, s[24:27], 0 offset:148 ; 4-byte Folded Spill
	ds_write2_b64 v2, v[34:35], v[40:41] offset1:1
	ds_write2_b64 v2, v[44:45], v[0:1] offset0:2 offset1:3
	ds_write_b64 v2, v[38:39] offset:32
	s_waitcnt vmcnt(0) lgkmcnt(0)
	s_barrier
	ds_read2_b64 v[8:11], v254 offset1:125
	ds_read2_b64 v[0:3], v236 offset0:116 offset1:241
	ds_read2_b64 v[14:17], v58 offset0:98 offset1:223
	;; [unrolled: 1-line block ×11, first 2 shown]
	ds_read_b64 v[54:55], v254 offset:24000
	global_load_dwordx4 v[76:79], v30, s[10:11] offset:16
	global_load_dwordx4 v[80:83], v30, s[10:11]
	v_mul_u32_u24_e32 v12, 25, v12
	v_add_lshl_u32 v12, v12, v13, 3
	s_waitcnt vmcnt(1) lgkmcnt(8)
	v_mul_f32_e32 v63, v18, v79
	s_waitcnt vmcnt(0)
	v_mul_f32_e32 v30, v3, v81
	v_fma_f32 v56, v2, v80, -v30
	v_mul_f32_e32 v57, v2, v81
	v_mul_f32_e32 v2, v15, v83
	v_fma_f32 v58, v14, v82, -v2
	v_mul_f32_e32 v2, v37, v77
	v_fma_f32 v60, v36, v76, -v2
	;; [unrolled: 2-line block ×3, first 2 shown]
	v_mul_lo_u16_sdwa v2, v216, s3 dst_sel:DWORD dst_unused:UNUSED_PAD src0_sel:BYTE_0 src1_sel:DWORD
	v_lshrrev_b16_e32 v2, 10, v2
	v_fmac_f32_e32 v57, v3, v80
	v_mul_lo_u16_e32 v3, 5, v2
	v_sub_u16_e32 v3, v216, v3
	v_and_b32_e32 v3, 0xff, v3
	v_mul_f32_e32 v59, v14, v83
	v_lshlrev_b32_e32 v14, 5, v3
	global_load_dwordx4 v[84:87], v14, s[10:11] offset:16
	global_load_dwordx4 v[88:91], v14, s[10:11]
	s_mov_b32 s3, 0xcccd
	v_fmac_f32_e32 v59, v15, v82
	v_fmac_f32_e32 v63, v19, v78
	v_mul_f32_e32 v61, v36, v77
	v_fmac_f32_e32 v61, v37, v76
	v_sub_f32_e32 v37, v59, v61
	v_mul_u32_u24_e32 v2, 25, v2
	v_add_lshl_u32 v2, v2, v3, 3
	s_waitcnt vmcnt(1) lgkmcnt(6)
	v_mul_f32_e32 v67, v26, v85
	s_waitcnt vmcnt(0)
	v_mul_f32_e32 v14, v23, v89
	v_fma_f32 v64, v22, v88, -v14
	v_mul_f32_e32 v14, v17, v91
	v_fma_f32 v65, v16, v90, -v14
	;; [unrolled: 2-line block ×4, first 2 shown]
	v_mul_u32_u24_sdwa v14, v217, s3 dst_sel:DWORD dst_unused:UNUSED_PAD src0_sel:WORD_0 src1_sel:DWORD
	v_lshrrev_b32_e32 v14, 18, v14
	v_mul_lo_u16_e32 v15, 5, v14
	v_sub_u16_e32 v15, v217, v15
	v_mul_f32_e32 v33, v16, v91
	v_lshlrev_b16_e32 v16, 2, v15
	v_lshlrev_b32_e32 v16, 3, v16
	global_load_dwordx4 v[92:95], v16, s[10:11] offset:16
	global_load_dwordx4 v[96:99], v16, s[10:11]
	v_fmac_f32_e32 v33, v17, v90
	v_fmac_f32_e32 v67, v27, v84
	v_mul_f32_e32 v69, v20, v87
	v_fmac_f32_e32 v69, v21, v86
	v_mul_f32_e32 v31, v22, v89
	v_fmac_f32_e32 v31, v23, v88
	s_waitcnt vmcnt(1)
	v_mul_f32_e32 v27, v28, v93
	s_waitcnt vmcnt(0)
	v_mul_f32_e32 v16, v25, v97
	v_fma_f32 v70, v24, v96, -v16
	s_waitcnt lgkmcnt(4)
	v_mul_f32_e32 v16, v39, v99
	v_fma_f32 v71, v38, v98, -v16
	v_mul_f32_e32 v16, v29, v93
	v_fma_f32 v112, v28, v92, -v16
	s_waitcnt lgkmcnt(3)
	v_mul_f32_e32 v16, v43, v95
	v_fma_f32 v113, v42, v94, -v16
	v_mul_u32_u24_sdwa v16, v218, s3 dst_sel:DWORD dst_unused:UNUSED_PAD src0_sel:WORD_0 src1_sel:DWORD
	v_lshrrev_b32_e32 v16, 18, v16
	v_mul_lo_u16_e32 v17, 5, v16
	v_sub_u16_e32 v17, v218, v17
	v_lshlrev_b16_e32 v18, 2, v17
	v_lshlrev_b32_e32 v18, 3, v18
	global_load_dwordx4 v[100:103], v18, s[10:11] offset:16
	global_load_dwordx4 v[104:107], v18, s[10:11]
	v_mul_f32_e32 v24, v24, v97
	v_fmac_f32_e32 v24, v25, v96
	v_mul_f32_e32 v25, v38, v99
	v_fmac_f32_e32 v25, v39, v98
	v_sub_f32_e32 v39, v56, v58
	v_fmac_f32_e32 v27, v29, v92
	v_mul_f32_e32 v29, v42, v95
	v_sub_f32_e32 v42, v56, v62
	v_fmac_f32_e32 v29, v43, v94
	v_sub_f32_e32 v43, v58, v60
	s_waitcnt vmcnt(1)
	v_mul_f32_e32 v23, v44, v103
	s_waitcnt vmcnt(0) lgkmcnt(2)
	v_mul_f32_e32 v18, v47, v105
	v_fma_f32 v26, v46, v104, -v18
	v_mul_f32_e32 v18, v41, v107
	v_fma_f32 v28, v40, v106, -v18
	s_waitcnt lgkmcnt(1)
	v_mul_f32_e32 v18, v51, v101
	v_fma_f32 v30, v50, v100, -v18
	v_mul_f32_e32 v18, v45, v103
	v_fma_f32 v32, v44, v102, -v18
	v_mul_u32_u24_sdwa v18, v219, s3 dst_sel:DWORD dst_unused:UNUSED_PAD src0_sel:WORD_0 src1_sel:DWORD
	v_lshrrev_b32_e32 v18, 18, v18
	v_mul_lo_u16_e32 v19, 5, v18
	v_sub_u16_e32 v19, v219, v19
	v_lshlrev_b16_e32 v36, 2, v19
	v_lshlrev_b32_e32 v36, 3, v36
	global_load_dwordx4 v[72:75], v36, s[10:11] offset:16
	global_load_dwordx4 v[108:111], v36, s[10:11]
	v_mul_f32_e32 v21, v40, v107
	v_sub_f32_e32 v40, v62, v60
	v_add_f32_e32 v39, v39, v40
	v_fmac_f32_e32 v21, v41, v106
	v_sub_f32_e32 v41, v60, v62
	v_sub_f32_e32 v44, v63, v61
	v_fmac_f32_e32 v23, v45, v102
	v_sub_f32_e32 v45, v61, v63
	v_mul_f32_e32 v20, v46, v105
	v_fmac_f32_e32 v20, v47, v104
	v_sub_f32_e32 v47, v64, v65
	v_mul_f32_e32 v22, v50, v101
	v_sub_f32_e32 v50, v64, v68
	v_fmac_f32_e32 v22, v51, v100
	v_sub_f32_e32 v51, v65, v66
	s_waitcnt vmcnt(0) lgkmcnt(0)
	s_barrier
	buffer_store_dword v12, off, s[24:27], 0 offset:144 ; 4-byte Folded Spill
	s_movk_i32 s3, 0x47af
	v_mul_f32_e32 v119, v52, v73
	v_mul_f32_e32 v36, v49, v109
	;; [unrolled: 1-line block ×3, first 2 shown]
	v_fma_f32 v114, v48, v108, -v36
	v_mul_f32_e32 v36, v35, v111
	v_fmac_f32_e32 v117, v35, v110
	v_add_f32_e32 v35, v58, v60
	v_fma_f32 v116, v34, v110, -v36
	v_fma_f32 v36, -0.5, v35, v8
	v_sub_f32_e32 v35, v57, v63
	v_mov_b32_e32 v38, v36
	v_fmac_f32_e32 v38, 0x3f737871, v35
	v_fmac_f32_e32 v36, 0xbf737871, v35
	v_mul_f32_e32 v34, v53, v73
	v_fmac_f32_e32 v38, 0x3f167918, v37
	v_fmac_f32_e32 v36, 0xbf167918, v37
	v_fma_f32 v118, v52, v72, -v34
	v_mul_f32_e32 v34, v55, v75
	v_fmac_f32_e32 v38, 0x3e9e377a, v39
	v_fmac_f32_e32 v36, 0x3e9e377a, v39
	v_add_f32_e32 v39, v56, v62
	v_fma_f32 v120, v54, v74, -v34
	v_add_f32_e32 v34, v8, v56
	v_fma_f32 v8, -0.5, v39, v8
	v_mov_b32_e32 v40, v8
	v_fmac_f32_e32 v40, 0xbf737871, v37
	v_sub_f32_e32 v39, v58, v56
	v_fmac_f32_e32 v8, 0x3f737871, v37
	v_add_f32_e32 v37, v59, v61
	v_fmac_f32_e32 v40, 0x3f167918, v35
	v_add_f32_e32 v39, v39, v41
	v_fmac_f32_e32 v8, 0xbf167918, v35
	v_fma_f32 v37, -0.5, v37, v9
	v_fmac_f32_e32 v40, 0x3e9e377a, v39
	v_fmac_f32_e32 v8, 0x3e9e377a, v39
	v_mov_b32_e32 v39, v37
	v_fmac_f32_e32 v39, 0xbf737871, v42
	v_sub_f32_e32 v41, v57, v59
	v_fmac_f32_e32 v37, 0x3f737871, v42
	v_fmac_f32_e32 v39, 0xbf167918, v43
	v_add_f32_e32 v41, v41, v44
	v_fmac_f32_e32 v37, 0x3f167918, v43
	v_fmac_f32_e32 v39, 0x3e9e377a, v41
	;; [unrolled: 1-line block ×3, first 2 shown]
	v_add_f32_e32 v41, v57, v63
	v_add_f32_e32 v35, v9, v57
	v_fma_f32 v9, -0.5, v41, v9
	v_mov_b32_e32 v41, v9
	v_fmac_f32_e32 v41, 0x3f737871, v43
	v_sub_f32_e32 v44, v59, v57
	v_fmac_f32_e32 v9, 0xbf737871, v43
	v_fmac_f32_e32 v41, 0xbf167918, v42
	v_add_f32_e32 v44, v44, v45
	v_fmac_f32_e32 v9, 0x3f167918, v42
	v_add_f32_e32 v43, v65, v66
	v_fmac_f32_e32 v41, 0x3e9e377a, v44
	v_fmac_f32_e32 v9, 0x3e9e377a, v44
	v_fma_f32 v44, -0.5, v43, v10
	v_sub_f32_e32 v43, v31, v69
	v_mov_b32_e32 v46, v44
	v_mul_f32_e32 v115, v48, v109
	v_fmac_f32_e32 v46, 0x3f737871, v43
	v_sub_f32_e32 v45, v33, v67
	v_sub_f32_e32 v48, v68, v66
	v_fmac_f32_e32 v44, 0xbf737871, v43
	v_fmac_f32_e32 v46, 0x3f167918, v45
	v_add_f32_e32 v47, v47, v48
	v_fmac_f32_e32 v44, 0xbf167918, v45
	v_fmac_f32_e32 v46, 0x3e9e377a, v47
	;; [unrolled: 1-line block ×3, first 2 shown]
	v_add_f32_e32 v47, v64, v68
	v_add_f32_e32 v42, v10, v64
	v_fma_f32 v10, -0.5, v47, v10
	v_mov_b32_e32 v48, v10
	v_fmac_f32_e32 v115, v49, v108
	v_fmac_f32_e32 v48, 0xbf737871, v45
	v_sub_f32_e32 v47, v65, v64
	v_sub_f32_e32 v49, v66, v68
	v_fmac_f32_e32 v10, 0x3f737871, v45
	v_add_f32_e32 v45, v33, v67
	v_fmac_f32_e32 v48, 0x3f167918, v43
	v_add_f32_e32 v47, v47, v49
	v_fmac_f32_e32 v10, 0xbf167918, v43
	v_fma_f32 v45, -0.5, v45, v11
	v_fmac_f32_e32 v48, 0x3e9e377a, v47
	v_fmac_f32_e32 v10, 0x3e9e377a, v47
	v_mov_b32_e32 v47, v45
	v_fmac_f32_e32 v47, 0xbf737871, v50
	v_sub_f32_e32 v49, v31, v33
	v_sub_f32_e32 v52, v69, v67
	v_fmac_f32_e32 v45, 0x3f737871, v50
	v_fmac_f32_e32 v47, 0xbf167918, v51
	v_add_f32_e32 v49, v49, v52
	v_fmac_f32_e32 v45, 0x3f167918, v51
	v_fmac_f32_e32 v47, 0x3e9e377a, v49
	;; [unrolled: 1-line block ×3, first 2 shown]
	v_add_f32_e32 v49, v31, v69
	v_add_f32_e32 v43, v11, v31
	v_fmac_f32_e32 v11, -0.5, v49
	v_mov_b32_e32 v49, v11
	v_add_f32_e32 v43, v43, v33
	v_fmac_f32_e32 v49, 0x3f737871, v51
	v_sub_f32_e32 v31, v33, v31
	v_sub_f32_e32 v33, v67, v69
	v_fmac_f32_e32 v11, 0xbf737871, v51
	v_fmac_f32_e32 v49, 0xbf167918, v50
	v_add_f32_e32 v31, v31, v33
	v_fmac_f32_e32 v11, 0x3f167918, v50
	v_fmac_f32_e32 v49, 0x3e9e377a, v31
	;; [unrolled: 1-line block ×3, first 2 shown]
	v_add_f32_e32 v31, v4, v70
	v_add_f32_e32 v31, v31, v71
	;; [unrolled: 1-line block ×5, first 2 shown]
	v_fma_f32 v52, -0.5, v31, v4
	v_mul_f32_e32 v121, v54, v75
	v_sub_f32_e32 v31, v24, v29
	v_mov_b32_e32 v54, v52
	v_fmac_f32_e32 v119, v53, v72
	v_fmac_f32_e32 v54, 0x3f737871, v31
	v_sub_f32_e32 v33, v25, v27
	v_sub_f32_e32 v51, v70, v71
	v_sub_f32_e32 v53, v113, v112
	v_fmac_f32_e32 v52, 0xbf737871, v31
	v_fmac_f32_e32 v54, 0x3f167918, v33
	v_add_f32_e32 v51, v51, v53
	v_fmac_f32_e32 v52, 0xbf167918, v33
	v_fmac_f32_e32 v54, 0x3e9e377a, v51
	;; [unrolled: 1-line block ×3, first 2 shown]
	v_add_f32_e32 v51, v70, v113
	v_fma_f32 v4, -0.5, v51, v4
	v_mov_b32_e32 v56, v4
	v_fmac_f32_e32 v56, 0xbf737871, v33
	v_fmac_f32_e32 v4, 0x3f737871, v33
	;; [unrolled: 1-line block ×4, first 2 shown]
	v_add_f32_e32 v31, v5, v24
	v_sub_f32_e32 v51, v71, v70
	v_sub_f32_e32 v53, v112, v113
	v_add_f32_e32 v31, v31, v25
	v_add_f32_e32 v51, v51, v53
	;; [unrolled: 1-line block ×3, first 2 shown]
	v_fmac_f32_e32 v56, 0x3e9e377a, v51
	v_fmac_f32_e32 v4, 0x3e9e377a, v51
	v_add_f32_e32 v51, v31, v29
	v_add_f32_e32 v31, v25, v27
	v_fma_f32 v53, -0.5, v31, v5
	v_fmac_f32_e32 v121, v55, v74
	v_sub_f32_e32 v31, v70, v113
	v_mov_b32_e32 v55, v53
	v_add_f32_e32 v34, v34, v58
	v_fmac_f32_e32 v55, 0xbf737871, v31
	v_sub_f32_e32 v33, v71, v112
	v_sub_f32_e32 v57, v24, v25
	;; [unrolled: 1-line block ×3, first 2 shown]
	v_fmac_f32_e32 v53, 0x3f737871, v31
	v_fmac_f32_e32 v55, 0xbf167918, v33
	v_add_f32_e32 v57, v57, v58
	v_fmac_f32_e32 v53, 0x3f167918, v33
	v_fmac_f32_e32 v55, 0x3e9e377a, v57
	;; [unrolled: 1-line block ×3, first 2 shown]
	v_add_f32_e32 v57, v24, v29
	v_fma_f32 v5, -0.5, v57, v5
	v_sub_f32_e32 v24, v25, v24
	v_sub_f32_e32 v25, v27, v29
	v_mov_b32_e32 v57, v5
	v_add_f32_e32 v24, v24, v25
	v_add_f32_e32 v25, v28, v30
	v_fmac_f32_e32 v57, 0x3f737871, v33
	v_fmac_f32_e32 v5, 0xbf737871, v33
	v_fma_f32 v58, -0.5, v25, v6
	v_fmac_f32_e32 v57, 0xbf167918, v31
	v_fmac_f32_e32 v5, 0x3f167918, v31
	v_sub_f32_e32 v25, v20, v23
	v_mov_b32_e32 v31, v58
	v_fmac_f32_e32 v31, 0x3f737871, v25
	v_sub_f32_e32 v29, v21, v22
	v_sub_f32_e32 v27, v26, v28
	;; [unrolled: 1-line block ×3, first 2 shown]
	v_fmac_f32_e32 v58, 0xbf737871, v25
	v_fmac_f32_e32 v31, 0x3f167918, v29
	v_add_f32_e32 v27, v27, v33
	v_fmac_f32_e32 v58, 0xbf167918, v29
	v_fmac_f32_e32 v31, 0x3e9e377a, v27
	v_fmac_f32_e32 v58, 0x3e9e377a, v27
	v_add_f32_e32 v27, v26, v32
	v_fmac_f32_e32 v57, 0x3e9e377a, v24
	v_fmac_f32_e32 v5, 0x3e9e377a, v24
	v_add_f32_e32 v24, v6, v26
	v_fma_f32 v6, -0.5, v27, v6
	v_mov_b32_e32 v27, v6
	v_add_f32_e32 v35, v35, v59
	v_add_f32_e32 v24, v24, v28
	v_fmac_f32_e32 v27, 0xbf737871, v29
	v_sub_f32_e32 v33, v28, v26
	v_sub_f32_e32 v59, v30, v32
	v_fmac_f32_e32 v6, 0x3f737871, v29
	v_add_f32_e32 v29, v21, v22
	v_add_f32_e32 v24, v24, v30
	;; [unrolled: 1-line block ×3, first 2 shown]
	v_fma_f32 v59, -0.5, v29, v7
	v_add_f32_e32 v24, v24, v32
	v_sub_f32_e32 v26, v26, v32
	v_mov_b32_e32 v32, v59
	v_fmac_f32_e32 v32, 0xbf737871, v26
	v_sub_f32_e32 v29, v28, v30
	v_sub_f32_e32 v28, v20, v21
	;; [unrolled: 1-line block ×3, first 2 shown]
	v_fmac_f32_e32 v59, 0x3f737871, v26
	v_fmac_f32_e32 v27, 0x3f167918, v25
	;; [unrolled: 1-line block ×3, first 2 shown]
	v_add_f32_e32 v25, v7, v20
	v_fmac_f32_e32 v32, 0xbf167918, v29
	v_add_f32_e32 v28, v28, v30
	v_fmac_f32_e32 v59, 0x3f167918, v29
	;; [unrolled: 2-line block ×3, first 2 shown]
	v_fmac_f32_e32 v59, 0x3e9e377a, v28
	v_add_f32_e32 v28, v20, v23
	v_sub_f32_e32 v20, v21, v20
	v_sub_f32_e32 v21, v22, v23
	v_fmac_f32_e32 v7, -0.5, v28
	v_add_f32_e32 v20, v20, v21
	v_add_f32_e32 v21, v116, v118
	;; [unrolled: 1-line block ×3, first 2 shown]
	v_mov_b32_e32 v28, v7
	v_fma_f32 v22, -0.5, v21, v0
	v_fmac_f32_e32 v28, 0x3f737871, v29
	v_fmac_f32_e32 v7, 0xbf737871, v29
	v_sub_f32_e32 v21, v115, v121
	v_mov_b32_e32 v29, v22
	v_add_f32_e32 v25, v25, v23
	v_fmac_f32_e32 v28, 0xbf167918, v26
	v_fmac_f32_e32 v7, 0x3f167918, v26
	;; [unrolled: 1-line block ×3, first 2 shown]
	v_sub_f32_e32 v23, v117, v119
	v_sub_f32_e32 v26, v114, v116
	;; [unrolled: 1-line block ×3, first 2 shown]
	v_fmac_f32_e32 v22, 0xbf737871, v21
	v_fmac_f32_e32 v29, 0x3f167918, v23
	v_add_f32_e32 v26, v26, v30
	v_fmac_f32_e32 v22, 0xbf167918, v23
	v_fmac_f32_e32 v29, 0x3e9e377a, v26
	;; [unrolled: 1-line block ×3, first 2 shown]
	v_add_f32_e32 v26, v114, v120
	v_fmac_f32_e32 v28, 0x3e9e377a, v20
	v_fmac_f32_e32 v7, 0x3e9e377a, v20
	v_add_f32_e32 v20, v0, v114
	v_fma_f32 v0, -0.5, v26, v0
	v_add_f32_e32 v34, v34, v60
	v_mov_b32_e32 v60, v0
	v_fmac_f32_e32 v60, 0xbf737871, v23
	v_sub_f32_e32 v26, v116, v114
	v_sub_f32_e32 v30, v118, v120
	v_fmac_f32_e32 v0, 0x3f737871, v23
	v_add_f32_e32 v23, v117, v119
	v_fmac_f32_e32 v60, 0x3f167918, v21
	v_add_f32_e32 v26, v26, v30
	v_fmac_f32_e32 v0, 0xbf167918, v21
	v_fma_f32 v23, -0.5, v23, v1
	v_fmac_f32_e32 v60, 0x3e9e377a, v26
	v_fmac_f32_e32 v0, 0x3e9e377a, v26
	v_sub_f32_e32 v26, v114, v120
	v_mov_b32_e32 v30, v23
	v_add_f32_e32 v34, v34, v62
	v_add_f32_e32 v35, v35, v61
	;; [unrolled: 1-line block ×3, first 2 shown]
	v_fmac_f32_e32 v27, 0x3e9e377a, v33
	v_fmac_f32_e32 v6, 0x3e9e377a, v33
	;; [unrolled: 1-line block ×3, first 2 shown]
	v_sub_f32_e32 v33, v116, v118
	v_sub_f32_e32 v61, v115, v117
	;; [unrolled: 1-line block ×3, first 2 shown]
	v_fmac_f32_e32 v23, 0x3f737871, v26
	v_add_f32_e32 v42, v42, v66
	v_add_f32_e32 v43, v43, v67
	v_fmac_f32_e32 v30, 0xbf167918, v33
	v_add_f32_e32 v61, v61, v62
	v_fmac_f32_e32 v23, 0x3f167918, v33
	v_add_f32_e32 v35, v35, v63
	v_add_f32_e32 v42, v42, v68
	;; [unrolled: 1-line block ×3, first 2 shown]
	v_fmac_f32_e32 v30, 0x3e9e377a, v61
	v_fmac_f32_e32 v23, 0x3e9e377a, v61
	v_add_f32_e32 v61, v115, v121
	v_add_f32_e32 v21, v1, v115
	v_fmac_f32_e32 v1, -0.5, v61
	ds_write2_b64 v12, v[34:35], v[38:39] offset1:5
	ds_write2_b64 v12, v[40:41], v[8:9] offset0:10 offset1:15
	ds_write_b64 v12, v[36:37] offset:160
	buffer_store_dword v2, off, s[24:27], 0 offset:120 ; 4-byte Folded Spill
	ds_write2_b64 v2, v[42:43], v[46:47] offset1:5
	ds_write2_b64 v2, v[48:49], v[10:11] offset0:10 offset1:15
	ds_write_b64 v2, v[44:45] offset:160
	v_mad_legacy_u16 v2, v14, 25, v15
	v_mov_b32_e32 v61, v1
	v_lshlrev_b32_e32 v2, 3, v2
	v_fmac_f32_e32 v61, 0x3f737871, v33
	v_sub_f32_e32 v62, v117, v115
	v_sub_f32_e32 v63, v119, v121
	v_fmac_f32_e32 v1, 0xbf737871, v33
	buffer_store_dword v2, off, s[24:27], 0 offset:108 ; 4-byte Folded Spill
	ds_write2_b64 v2, v[50:51], v[54:55] offset1:5
	ds_write2_b64 v2, v[56:57], v[4:5] offset0:10 offset1:15
	ds_write_b64 v2, v[52:53] offset:160
	v_mov_b32_e32 v4, 41
	v_fmac_f32_e32 v61, 0xbf167918, v26
	v_add_f32_e32 v62, v62, v63
	v_fmac_f32_e32 v1, 0x3f167918, v26
	v_mul_lo_u16_sdwa v5, v126, v4 dst_sel:DWORD dst_unused:UNUSED_PAD src0_sel:BYTE_0 src1_sel:DWORD
	v_fmac_f32_e32 v61, 0x3e9e377a, v62
	v_fmac_f32_e32 v1, 0x3e9e377a, v62
	v_mad_legacy_u16 v2, v16, 25, v17
	v_lshrrev_b16_e32 v62, 10, v5
	v_add_f32_e32 v20, v20, v116
	v_add_f32_e32 v21, v21, v117
	v_lshlrev_b32_e32 v2, 3, v2
	v_mul_lo_u16_e32 v5, 25, v62
	v_add_f32_e32 v20, v20, v118
	v_add_f32_e32 v21, v21, v119
	buffer_store_dword v2, off, s[24:27], 0 offset:112 ; 4-byte Folded Spill
	ds_write2_b64 v2, v[24:25], v[31:32] offset1:5
	ds_write2_b64 v2, v[27:28], v[6:7] offset0:10 offset1:15
	ds_write_b64 v2, v[58:59] offset:160
	v_mad_legacy_u16 v2, v18, 25, v19
	v_sub_u16_e32 v5, v126, v5
	v_add_f32_e32 v20, v20, v120
	v_add_f32_e32 v21, v21, v121
	v_lshlrev_b32_e32 v2, 3, v2
	v_and_b32_e32 v63, 0xff, v5
	buffer_store_dword v2, off, s[24:27], 0 offset:116 ; 4-byte Folded Spill
	ds_write2_b64 v2, v[20:21], v[29:30] offset1:5
	ds_write2_b64 v2, v[60:61], v[0:1] offset0:10 offset1:15
	ds_write_b64 v2, v[22:23] offset:160
	s_waitcnt vmcnt(0) lgkmcnt(0)
	s_barrier
	ds_read2_b64 v[48:51], v254 offset1:125
	ds_read2_b64 v[40:43], v236 offset0:116 offset1:241
	ds_read2_b64 v[0:3], v127 offset0:98 offset1:223
	;; [unrolled: 1-line block ×11, first 2 shown]
	buffer_store_dword v137, off, s[24:27], 0 offset:104 ; 4-byte Folded Spill
	v_lshlrev_b32_e32 v5, 5, v63
	ds_read_b64 v[60:61], v254 offset:24000
	global_load_dwordx4 v[184:187], v5, s[10:11] offset:176
	global_load_dwordx4 v[180:183], v5, s[10:11] offset:160
	s_waitcnt vmcnt(1) lgkmcnt(9)
	v_mul_f32_e32 v120, v54, v185
	s_waitcnt vmcnt(0)
	v_mul_f32_e32 v5, v43, v181
	v_fma_f32 v13, v42, v180, -v5
	v_mul_f32_e32 v5, v1, v183
	v_fma_f32 v18, v0, v182, -v5
	v_mul_f32_e32 v117, v0, v183
	v_mul_f32_e32 v0, v55, v185
	v_fma_f32 v19, v54, v184, -v0
	s_waitcnt lgkmcnt(8)
	v_mul_f32_e32 v0, v15, v187
	v_fma_f32 v126, v14, v186, -v0
	v_mul_lo_u16_sdwa v0, v216, v4 dst_sel:DWORD dst_unused:UNUSED_PAD src0_sel:BYTE_0 src1_sel:DWORD
	v_mul_f32_e32 v114, v42, v181
	v_lshrrev_b16_e32 v42, 10, v0
	v_mul_lo_u16_e32 v0, 25, v42
	v_sub_u16_e32 v0, v216, v0
	v_fmac_f32_e32 v114, v43, v180
	v_and_b32_e32 v43, 0xff, v0
	v_lshlrev_b32_e32 v0, 5, v43
	global_load_dwordx4 v[176:179], v0, s[10:11] offset:176
	global_load_dwordx4 v[172:175], v0, s[10:11] offset:160
	v_fmac_f32_e32 v117, v1, v182
	v_fmac_f32_e32 v120, v55, v184
	v_mul_f32_e32 v127, v14, v187
	v_fmac_f32_e32 v127, v15, v186
	v_sub_f32_e32 v11, v117, v120
	v_sub_f32_e32 v14, v13, v18
	;; [unrolled: 1-line block ×3, first 2 shown]
	v_add_f32_e32 v14, v14, v15
	v_sub_f32_e32 v15, v18, v13
	s_waitcnt vmcnt(1)
	v_mul_f32_e32 v71, v16, v179
	s_waitcnt vmcnt(0) lgkmcnt(7)
	v_mul_f32_e32 v0, v23, v173
	v_fma_f32 v119, v22, v172, -v0
	v_mul_f32_e32 v0, v3, v175
	v_fma_f32 v121, v2, v174, -v0
	s_waitcnt lgkmcnt(6)
	v_mul_f32_e32 v0, v27, v177
	v_fma_f32 v128, v26, v176, -v0
	v_mul_f32_e32 v0, v17, v179
	v_fma_f32 v129, v16, v178, -v0
	v_mul_u32_u24_sdwa v0, v217, s3 dst_sel:DWORD dst_unused:UNUSED_PAD src0_sel:WORD_0 src1_sel:DWORD
	v_sub_u16_sdwa v1, v217, v0 dst_sel:DWORD dst_unused:UNUSED_PAD src0_sel:DWORD src1_sel:WORD_1
	v_lshrrev_b16_e32 v1, 1, v1
	v_add_u16_sdwa v0, v1, v0 dst_sel:DWORD dst_unused:UNUSED_PAD src0_sel:DWORD src1_sel:WORD_1
	v_lshrrev_b16_e32 v54, 4, v0
	v_mul_lo_u16_e32 v0, 25, v54
	v_sub_u16_e32 v55, v217, v0
	v_lshlrev_b16_e32 v0, 5, v55
	v_add_co_u32_e32 v0, vcc, s10, v0
	v_mul_f32_e32 v5, v22, v173
	v_addc_co_u32_e32 v1, vcc, 0, v220, vcc
	v_fmac_f32_e32 v5, v23, v172
	global_load_dwordx4 v[168:171], v[0:1], off offset:176
	global_load_dwordx4 v[20:23], v[0:1], off offset:160
	v_mul_f32_e32 v7, v2, v175
	v_fmac_f32_e32 v7, v3, v174
	v_mul_f32_e32 v69, v26, v177
	v_fmac_f32_e32 v69, v27, v176
	v_fmac_f32_e32 v71, v17, v178
	s_waitcnt vmcnt(1)
	v_mul_f32_e32 v6, v28, v169
	s_waitcnt vmcnt(0)
	v_mul_f32_e32 v0, v25, v21
	v_fma_f32 v113, v24, v20, -v0
	s_waitcnt lgkmcnt(4)
	v_mul_f32_e32 v0, v31, v23
	v_fma_f32 v115, v30, v22, -v0
	v_mul_f32_e32 v0, v29, v169
	v_fma_f32 v118, v28, v168, -v0
	s_waitcnt lgkmcnt(3)
	v_mul_f32_e32 v0, v35, v171
	v_fma_f32 v16, v34, v170, -v0
	v_mul_u32_u24_sdwa v0, v218, s3 dst_sel:DWORD dst_unused:UNUSED_PAD src0_sel:WORD_0 src1_sel:DWORD
	v_sub_u16_sdwa v1, v218, v0 dst_sel:DWORD dst_unused:UNUSED_PAD src0_sel:DWORD src1_sel:WORD_1
	v_lshrrev_b16_e32 v1, 1, v1
	v_add_u16_sdwa v0, v1, v0 dst_sel:DWORD dst_unused:UNUSED_PAD src0_sel:DWORD src1_sel:WORD_1
	v_lshrrev_b16_e32 v64, 4, v0
	v_mul_lo_u16_e32 v0, 25, v64
	v_sub_u16_e32 v65, v218, v0
	v_lshlrev_b16_e32 v0, 5, v65
	v_add_co_u32_e32 v0, vcc, s10, v0
	v_mul_f32_e32 v3, v24, v21
	v_mul_f32_e32 v4, v30, v23
	v_addc_co_u32_e32 v1, vcc, 0, v220, vcc
	v_fmac_f32_e32 v3, v25, v20
	v_fmac_f32_e32 v4, v31, v22
	;; [unrolled: 1-line block ×3, first 2 shown]
	global_load_dwordx4 v[24:27], v[0:1], off offset:176
	global_load_dwordx4 v[28:31], v[0:1], off offset:160
	v_mul_f32_e32 v67, v34, v171
	v_fmac_f32_e32 v67, v35, v170
	s_waitcnt vmcnt(1)
	v_mul_f32_e32 v8, v37, v27
	v_fma_f32 v116, v36, v26, -v8
	v_mul_u32_u24_sdwa v8, v219, s3 dst_sel:DWORD dst_unused:UNUSED_PAD src0_sel:WORD_0 src1_sel:DWORD
	v_sub_u16_sdwa v9, v219, v8 dst_sel:DWORD dst_unused:UNUSED_PAD src0_sel:DWORD src1_sel:WORD_1
	v_lshrrev_b16_e32 v9, 1, v9
	s_waitcnt lgkmcnt(1)
	v_mul_f32_e32 v2, v57, v25
	v_add_u16_sdwa v8, v9, v8 dst_sel:DWORD dst_unused:UNUSED_PAD src0_sel:DWORD src1_sel:WORD_1
	v_fma_f32 v112, v56, v24, -v2
	v_mul_f32_e32 v2, v56, v25
	v_lshrrev_b16_e32 v56, 4, v8
	v_mul_lo_u16_e32 v8, 25, v56
	v_fmac_f32_e32 v2, v57, v24
	v_sub_u16_e32 v57, v219, v8
	v_lshlrev_b16_e32 v8, 5, v57
	s_waitcnt vmcnt(0)
	v_mul_f32_e32 v1, v33, v31
	v_add_co_u32_e32 v8, vcc, s10, v8
	v_fma_f32 v70, v32, v30, -v1
	v_mul_f32_e32 v1, v32, v31
	v_mul_f32_e32 v66, v36, v27
	v_addc_co_u32_e32 v9, vcc, 0, v220, vcc
	v_fmac_f32_e32 v1, v33, v30
	v_fmac_f32_e32 v66, v37, v26
	global_load_dwordx4 v[32:35], v[8:9], off offset:176
	global_load_dwordx4 v[36:39], v[8:9], off offset:160
	v_add_f32_e32 v9, v18, v19
	v_fma_f32 v10, -0.5, v9, v48
	v_sub_f32_e32 v9, v114, v127
	v_mov_b32_e32 v12, v10
	v_fmac_f32_e32 v12, 0x3f737871, v9
	v_fmac_f32_e32 v10, 0xbf737871, v9
	;; [unrolled: 1-line block ×6, first 2 shown]
	v_add_f32_e32 v14, v13, v126
	v_fma_f32 v14, -0.5, v14, v48
	v_mul_f32_e32 v0, v123, v29
	v_fma_f32 v68, v122, v28, -v0
	v_mul_f32_e32 v0, v122, v29
	v_fmac_f32_e32 v0, v123, v28
	s_waitcnt vmcnt(0) lgkmcnt(0)
	s_barrier
	s_movk_i32 s3, 0x625
	v_mul_f32_e32 v134, v58, v33
	v_mul_f32_e32 v8, v125, v37
	v_fma_f32 v17, v124, v36, -v8
	v_mul_f32_e32 v8, v53, v39
	v_fma_f32 v131, v52, v38, -v8
	;; [unrolled: 2-line block ×4, first 2 shown]
	v_add_f32_e32 v8, v48, v13
	v_mov_b32_e32 v48, v14
	v_fmac_f32_e32 v48, 0xbf737871, v11
	v_fmac_f32_e32 v14, 0x3f737871, v11
	v_add_f32_e32 v11, v117, v120
	v_mul_f32_e32 v132, v52, v39
	v_sub_f32_e32 v52, v19, v126
	v_fma_f32 v11, -0.5, v11, v49
	v_add_f32_e32 v8, v8, v18
	v_fmac_f32_e32 v48, 0x3f167918, v9
	v_add_f32_e32 v15, v15, v52
	v_fmac_f32_e32 v14, 0xbf167918, v9
	v_sub_f32_e32 v52, v13, v126
	v_mov_b32_e32 v13, v11
	v_add_f32_e32 v8, v8, v19
	v_fmac_f32_e32 v48, 0x3e9e377a, v15
	v_fmac_f32_e32 v14, 0x3e9e377a, v15
	;; [unrolled: 1-line block ×3, first 2 shown]
	v_sub_f32_e32 v18, v18, v19
	v_sub_f32_e32 v15, v114, v117
	v_sub_f32_e32 v19, v127, v120
	v_fmac_f32_e32 v11, 0x3f737871, v52
	v_fmac_f32_e32 v13, 0xbf167918, v18
	v_add_f32_e32 v15, v15, v19
	v_fmac_f32_e32 v11, 0x3f167918, v18
	v_fmac_f32_e32 v13, 0x3e9e377a, v15
	;; [unrolled: 1-line block ×3, first 2 shown]
	v_add_f32_e32 v15, v114, v127
	v_fma_f32 v15, -0.5, v15, v49
	v_add_f32_e32 v9, v49, v114
	v_mov_b32_e32 v49, v15
	v_fmac_f32_e32 v49, 0x3f737871, v18
	v_fmac_f32_e32 v15, 0xbf737871, v18
	v_add_f32_e32 v18, v50, v119
	v_add_f32_e32 v18, v18, v121
	;; [unrolled: 1-line block ×3, first 2 shown]
	v_fmac_f32_e32 v49, 0xbf167918, v52
	v_fmac_f32_e32 v15, 0x3f167918, v52
	v_add_f32_e32 v52, v18, v129
	v_add_f32_e32 v18, v121, v128
	v_fmac_f32_e32 v132, v53, v38
	v_sub_f32_e32 v19, v117, v114
	v_sub_f32_e32 v53, v120, v127
	v_fma_f32 v58, -0.5, v18, v50
	v_mul_f32_e32 v136, v60, v35
	v_add_f32_e32 v19, v19, v53
	v_sub_f32_e32 v18, v5, v71
	v_mov_b32_e32 v60, v58
	v_fmac_f32_e32 v134, v59, v32
	v_fmac_f32_e32 v49, 0x3e9e377a, v19
	;; [unrolled: 1-line block ×4, first 2 shown]
	v_sub_f32_e32 v19, v7, v69
	v_sub_f32_e32 v53, v119, v121
	;; [unrolled: 1-line block ×3, first 2 shown]
	v_fmac_f32_e32 v58, 0xbf737871, v18
	v_fmac_f32_e32 v60, 0x3f167918, v19
	v_add_f32_e32 v53, v53, v59
	v_fmac_f32_e32 v58, 0xbf167918, v19
	v_fmac_f32_e32 v60, 0x3e9e377a, v53
	;; [unrolled: 1-line block ×3, first 2 shown]
	v_add_f32_e32 v53, v119, v129
	v_add_f32_e32 v9, v9, v117
	v_fma_f32 v50, -0.5, v53, v50
	v_add_f32_e32 v9, v9, v120
	v_mov_b32_e32 v120, v50
	v_fmac_f32_e32 v120, 0xbf737871, v19
	v_fmac_f32_e32 v50, 0x3f737871, v19
	;; [unrolled: 1-line block ×4, first 2 shown]
	v_add_f32_e32 v18, v51, v5
	v_sub_f32_e32 v53, v121, v119
	v_sub_f32_e32 v59, v128, v129
	v_add_f32_e32 v18, v18, v7
	v_add_f32_e32 v53, v53, v59
	;; [unrolled: 1-line block ×3, first 2 shown]
	v_fmac_f32_e32 v120, 0x3e9e377a, v53
	v_fmac_f32_e32 v50, 0x3e9e377a, v53
	v_add_f32_e32 v53, v18, v71
	v_add_f32_e32 v18, v7, v69
	v_fma_f32 v59, -0.5, v18, v51
	v_fmac_f32_e32 v136, v61, v34
	v_sub_f32_e32 v18, v119, v129
	v_mov_b32_e32 v61, v59
	v_fmac_f32_e32 v61, 0xbf737871, v18
	v_sub_f32_e32 v19, v121, v128
	v_sub_f32_e32 v114, v5, v7
	;; [unrolled: 1-line block ×3, first 2 shown]
	v_fmac_f32_e32 v59, 0x3f737871, v18
	v_fmac_f32_e32 v61, 0xbf167918, v19
	v_add_f32_e32 v114, v114, v117
	v_fmac_f32_e32 v59, 0x3f167918, v19
	v_fmac_f32_e32 v61, 0x3e9e377a, v114
	;; [unrolled: 1-line block ×3, first 2 shown]
	v_add_f32_e32 v114, v5, v71
	v_fmac_f32_e32 v51, -0.5, v114
	v_mov_b32_e32 v121, v51
	v_fmac_f32_e32 v121, 0x3f737871, v19
	v_sub_f32_e32 v5, v7, v5
	v_sub_f32_e32 v7, v69, v71
	v_fmac_f32_e32 v51, 0xbf737871, v19
	v_fmac_f32_e32 v121, 0xbf167918, v18
	v_add_f32_e32 v5, v5, v7
	v_fmac_f32_e32 v51, 0x3f167918, v18
	v_fmac_f32_e32 v121, 0x3e9e377a, v5
	;; [unrolled: 1-line block ×3, first 2 shown]
	v_add_f32_e32 v5, v44, v113
	v_add_f32_e32 v5, v5, v115
	;; [unrolled: 1-line block ×5, first 2 shown]
	v_mul_f32_e32 v130, v124, v37
	v_fma_f32 v124, -0.5, v5, v44
	v_add_f32_e32 v8, v8, v126
	v_sub_f32_e32 v5, v3, v67
	v_mov_b32_e32 v126, v124
	v_fmac_f32_e32 v126, 0x3f737871, v5
	v_sub_f32_e32 v7, v4, v6
	v_sub_f32_e32 v18, v113, v115
	;; [unrolled: 1-line block ×3, first 2 shown]
	v_fmac_f32_e32 v124, 0xbf737871, v5
	v_fmac_f32_e32 v126, 0x3f167918, v7
	v_add_f32_e32 v18, v18, v19
	v_fmac_f32_e32 v124, 0xbf167918, v7
	v_fmac_f32_e32 v126, 0x3e9e377a, v18
	;; [unrolled: 1-line block ×3, first 2 shown]
	v_add_f32_e32 v18, v113, v16
	v_fma_f32 v44, -0.5, v18, v44
	v_mov_b32_e32 v114, v44
	v_fmac_f32_e32 v114, 0xbf737871, v7
	v_fmac_f32_e32 v44, 0x3f737871, v7
	;; [unrolled: 1-line block ×4, first 2 shown]
	v_add_f32_e32 v5, v45, v3
	v_add_f32_e32 v5, v5, v4
	;; [unrolled: 1-line block ×5, first 2 shown]
	v_fmac_f32_e32 v130, v125, v36
	v_sub_f32_e32 v18, v115, v113
	v_sub_f32_e32 v19, v118, v16
	v_fma_f32 v125, -0.5, v5, v45
	v_add_f32_e32 v9, v9, v127
	v_add_f32_e32 v18, v18, v19
	v_sub_f32_e32 v5, v113, v16
	v_mov_b32_e32 v127, v125
	v_fmac_f32_e32 v114, 0x3e9e377a, v18
	v_fmac_f32_e32 v44, 0x3e9e377a, v18
	;; [unrolled: 1-line block ×3, first 2 shown]
	v_sub_f32_e32 v7, v115, v118
	v_sub_f32_e32 v16, v3, v4
	;; [unrolled: 1-line block ×3, first 2 shown]
	v_fmac_f32_e32 v125, 0x3f737871, v5
	v_fmac_f32_e32 v127, 0xbf167918, v7
	v_add_f32_e32 v16, v16, v18
	v_fmac_f32_e32 v125, 0x3f167918, v7
	v_fmac_f32_e32 v127, 0x3e9e377a, v16
	;; [unrolled: 1-line block ×3, first 2 shown]
	v_add_f32_e32 v16, v3, v67
	v_fma_f32 v45, -0.5, v16, v45
	v_mov_b32_e32 v115, v45
	v_sub_f32_e32 v3, v4, v3
	v_sub_f32_e32 v4, v6, v67
	v_fmac_f32_e32 v115, 0x3f737871, v7
	v_add_f32_e32 v3, v3, v4
	v_fmac_f32_e32 v45, 0xbf737871, v7
	v_add_f32_e32 v4, v70, v112
	v_fmac_f32_e32 v115, 0xbf167918, v5
	v_fmac_f32_e32 v45, 0x3f167918, v5
	v_fma_f32 v5, -0.5, v4, v46
	v_sub_f32_e32 v4, v0, v66
	v_mov_b32_e32 v67, v5
	v_fmac_f32_e32 v67, 0x3f737871, v4
	v_sub_f32_e32 v6, v1, v2
	v_sub_f32_e32 v7, v68, v70
	;; [unrolled: 1-line block ×3, first 2 shown]
	v_fmac_f32_e32 v5, 0xbf737871, v4
	v_fmac_f32_e32 v67, 0x3f167918, v6
	v_add_f32_e32 v7, v7, v16
	v_fmac_f32_e32 v5, 0xbf167918, v6
	v_fmac_f32_e32 v67, 0x3e9e377a, v7
	;; [unrolled: 1-line block ×3, first 2 shown]
	v_add_f32_e32 v7, v68, v116
	v_fmac_f32_e32 v115, 0x3e9e377a, v3
	v_fmac_f32_e32 v45, 0x3e9e377a, v3
	v_add_f32_e32 v3, v46, v68
	v_fma_f32 v46, -0.5, v7, v46
	v_mov_b32_e32 v69, v46
	v_fmac_f32_e32 v69, 0xbf737871, v6
	v_sub_f32_e32 v7, v70, v68
	v_sub_f32_e32 v16, v112, v116
	v_fmac_f32_e32 v46, 0x3f737871, v6
	v_add_f32_e32 v6, v1, v2
	v_fmac_f32_e32 v69, 0x3f167918, v4
	v_add_f32_e32 v7, v7, v16
	v_fmac_f32_e32 v46, 0xbf167918, v4
	v_fma_f32 v6, -0.5, v6, v47
	v_fmac_f32_e32 v69, 0x3e9e377a, v7
	v_fmac_f32_e32 v46, 0x3e9e377a, v7
	v_sub_f32_e32 v7, v68, v116
	v_mov_b32_e32 v68, v6
	v_fmac_f32_e32 v68, 0xbf737871, v7
	v_sub_f32_e32 v16, v70, v112
	v_sub_f32_e32 v18, v0, v1
	;; [unrolled: 1-line block ×3, first 2 shown]
	v_fmac_f32_e32 v6, 0x3f737871, v7
	v_add_f32_e32 v4, v47, v0
	v_fmac_f32_e32 v68, 0xbf167918, v16
	v_add_f32_e32 v18, v18, v19
	;; [unrolled: 2-line block ×3, first 2 shown]
	v_fmac_f32_e32 v68, 0x3e9e377a, v18
	v_fmac_f32_e32 v6, 0x3e9e377a, v18
	v_add_f32_e32 v18, v0, v66
	v_sub_f32_e32 v0, v1, v0
	v_sub_f32_e32 v1, v2, v66
	v_add_f32_e32 v3, v3, v70
	v_fmac_f32_e32 v47, -0.5, v18
	v_add_f32_e32 v0, v0, v1
	v_add_f32_e32 v1, v131, v133
	;; [unrolled: 1-line block ×3, first 2 shown]
	v_mov_b32_e32 v70, v47
	v_fma_f32 v112, -0.5, v1, v40
	v_add_f32_e32 v3, v3, v116
	v_fmac_f32_e32 v70, 0x3f737871, v16
	v_fmac_f32_e32 v47, 0xbf737871, v16
	v_sub_f32_e32 v1, v130, v136
	v_mov_b32_e32 v116, v112
	v_add_f32_e32 v4, v4, v2
	v_fmac_f32_e32 v70, 0xbf167918, v7
	v_fmac_f32_e32 v47, 0x3f167918, v7
	;; [unrolled: 1-line block ×3, first 2 shown]
	v_sub_f32_e32 v2, v132, v134
	v_sub_f32_e32 v7, v17, v131
	;; [unrolled: 1-line block ×3, first 2 shown]
	v_fmac_f32_e32 v112, 0xbf737871, v1
	v_fmac_f32_e32 v116, 0x3f167918, v2
	v_add_f32_e32 v7, v7, v16
	v_fmac_f32_e32 v112, 0xbf167918, v2
	v_fmac_f32_e32 v116, 0x3e9e377a, v7
	;; [unrolled: 1-line block ×3, first 2 shown]
	v_add_f32_e32 v7, v17, v135
	v_fmac_f32_e32 v70, 0x3e9e377a, v0
	v_fmac_f32_e32 v47, 0x3e9e377a, v0
	v_add_f32_e32 v0, v40, v17
	v_fma_f32 v40, -0.5, v7, v40
	v_mov_b32_e32 v118, v40
	v_fmac_f32_e32 v118, 0xbf737871, v2
	v_fmac_f32_e32 v40, 0x3f737871, v2
	v_add_f32_e32 v2, v132, v134
	v_sub_f32_e32 v7, v131, v17
	v_sub_f32_e32 v16, v133, v135
	v_fma_f32 v113, -0.5, v2, v41
	v_fmac_f32_e32 v118, 0x3f167918, v1
	v_add_f32_e32 v7, v7, v16
	v_fmac_f32_e32 v40, 0xbf167918, v1
	v_sub_f32_e32 v2, v17, v135
	v_mov_b32_e32 v117, v113
	v_fmac_f32_e32 v118, 0x3e9e377a, v7
	v_fmac_f32_e32 v40, 0x3e9e377a, v7
	;; [unrolled: 1-line block ×3, first 2 shown]
	v_sub_f32_e32 v7, v131, v133
	v_sub_f32_e32 v16, v130, v132
	;; [unrolled: 1-line block ×3, first 2 shown]
	v_fmac_f32_e32 v113, 0x3f737871, v2
	v_fmac_f32_e32 v117, 0xbf167918, v7
	v_add_f32_e32 v16, v16, v17
	v_fmac_f32_e32 v113, 0x3f167918, v7
	v_fmac_f32_e32 v117, 0x3e9e377a, v16
	;; [unrolled: 1-line block ×3, first 2 shown]
	v_add_f32_e32 v16, v130, v136
	v_add_f32_e32 v1, v41, v130
	v_fmac_f32_e32 v41, -0.5, v16
	v_mov_b32_e32 v119, v41
	v_fmac_f32_e32 v119, 0x3f737871, v7
	v_fmac_f32_e32 v41, 0xbf737871, v7
	;; [unrolled: 1-line block ×4, first 2 shown]
	v_mul_u32_u24_e32 v2, 0x7d, v62
	v_add_lshl_u32 v2, v2, v63, 3
	buffer_store_dword v2, off, s[24:27], 0 offset:124 ; 4-byte Folded Spill
	ds_write2_b64 v2, v[8:9], v[12:13] offset1:25
	ds_write2_b64 v2, v[48:49], v[14:15] offset0:50 offset1:75
	ds_write_b64 v2, v[10:11] offset:800
	v_mul_u32_u24_e32 v2, 0x7d, v42
	v_add_lshl_u32 v2, v2, v43, 3
	buffer_store_dword v2, off, s[24:27], 0 offset:128 ; 4-byte Folded Spill
	ds_write2_b64 v2, v[52:53], v[60:61] offset1:25
	ds_write2_b64 v2, v[120:121], v[50:51] offset0:50 offset1:75
	ds_write_b64 v2, v[58:59] offset:800
	v_mad_legacy_u16 v2, v54, s16, v55
	v_lshlrev_b32_e32 v2, 3, v2
	buffer_store_dword v2, off, s[24:27], 0 offset:132 ; 4-byte Folded Spill
	ds_write2_b64 v2, v[122:123], v[126:127] offset1:25
	ds_write2_b64 v2, v[114:115], v[44:45] offset0:50 offset1:75
	ds_write_b64 v2, v[124:125] offset:800
	v_mad_legacy_u16 v2, v64, s16, v65
	v_add_f32_e32 v4, v4, v66
	v_add_f32_e32 v0, v0, v131
	;; [unrolled: 1-line block ×3, first 2 shown]
	v_sub_f32_e32 v16, v132, v130
	v_sub_f32_e32 v17, v134, v136
	v_lshlrev_b32_e32 v2, 3, v2
	v_add_f32_e32 v0, v0, v133
	v_add_f32_e32 v1, v1, v134
	;; [unrolled: 1-line block ×3, first 2 shown]
	buffer_store_dword v2, off, s[24:27], 0 offset:136 ; 4-byte Folded Spill
	ds_write2_b64 v2, v[3:4], v[67:68] offset1:25
	ds_write2_b64 v2, v[69:70], v[46:47] offset0:50 offset1:75
	ds_write_b64 v2, v[5:6] offset:800
	v_mad_legacy_u16 v2, v56, s16, v57
	v_add_f32_e32 v0, v0, v135
	v_add_f32_e32 v1, v1, v136
	v_fmac_f32_e32 v119, 0x3e9e377a, v16
	v_fmac_f32_e32 v41, 0x3e9e377a, v16
	v_lshlrev_b32_e32 v2, 3, v2
	v_lshlrev_b32_e32 v10, 5, v137
	buffer_store_dword v2, off, s[24:27], 0 offset:140 ; 4-byte Folded Spill
	ds_write2_b64 v2, v[0:1], v[116:117] offset1:25
	ds_write2_b64 v2, v[118:119], v[40:41] offset0:50 offset1:75
	ds_write_b64 v2, v[112:113] offset:800
	s_waitcnt vmcnt(0) lgkmcnt(0)
	s_barrier
	ds_read2_b64 v[120:123], v254 offset1:125
	ds_read2_b64 v[112:115], v236 offset0:116 offset1:241
	ds_read2_b64 v[0:3], v142 offset0:98 offset1:223
	;; [unrolled: 1-line block ×11, first 2 shown]
	ds_read_b64 v[8:9], v254 offset:24000
	global_load_dwordx4 v[40:43], v10, s[10:11] offset:976
	global_load_dwordx4 v[44:47], v10, s[10:11] offset:960
	v_add_co_u32_e32 v221, vcc, s10, v10
	v_addc_co_u32_e32 v222, vcc, 0, v220, vcc
	s_waitcnt vmcnt(1) lgkmcnt(9)
	v_mul_f32_e32 v15, v6, v41
	s_waitcnt vmcnt(0)
	v_mul_f32_e32 v12, v1, v47
	v_fma_f32 v12, v0, v46, -v12
	v_mul_f32_e32 v13, v0, v47
	v_mul_f32_e32 v0, v7, v41
	;; [unrolled: 1-line block ×3, first 2 shown]
	v_fma_f32 v14, v6, v40, -v0
	s_waitcnt lgkmcnt(8)
	v_mul_f32_e32 v6, v51, v43
	v_fma_f32 v10, v114, v44, -v10
	v_mul_f32_e32 v11, v114, v45
	v_fma_f32 v114, v50, v42, -v6
	v_mul_u32_u24_sdwa v6, v217, s3 dst_sel:DWORD dst_unused:UNUSED_PAD src0_sel:WORD_0 src1_sel:DWORD
	v_fmac_f32_e32 v15, v7, v40
	v_sub_u16_sdwa v7, v217, v6 dst_sel:DWORD dst_unused:UNUSED_PAD src0_sel:DWORD src1_sel:WORD_1
	v_lshrrev_b16_e32 v7, 1, v7
	v_add_u16_sdwa v6, v7, v6 dst_sel:DWORD dst_unused:UNUSED_PAD src0_sel:DWORD src1_sel:WORD_1
	v_lshrrev_b16_e32 v6, 6, v6
	v_mul_lo_u16_e32 v6, 0x7d, v6
	v_sub_u16_e32 v162, v217, v6
	v_mul_f32_e32 v0, v49, v43
	v_lshlrev_b16_e32 v6, 5, v162
	v_fma_f32 v16, v48, v42, -v0
	s_waitcnt lgkmcnt(7)
	v_mul_f32_e32 v0, v55, v45
	v_add_co_u32_e32 v6, vcc, s10, v6
	v_fmac_f32_e32 v11, v115, v44
	v_mul_f32_e32 v17, v48, v43
	v_fma_f32 v18, v54, v44, -v0
	v_mul_f32_e32 v0, v54, v45
	v_mul_f32_e32 v115, v50, v43
	v_addc_co_u32_e32 v7, vcc, 0, v220, vcc
	v_fmac_f32_e32 v17, v49, v42
	v_fmac_f32_e32 v0, v55, v44
	;; [unrolled: 1-line block ×3, first 2 shown]
	global_load_dwordx4 v[48:51], v[6:7], off offset:976
	global_load_dwordx4 v[52:55], v[6:7], off offset:960
	v_fmac_f32_e32 v13, v1, v46
	v_mul_f32_e32 v1, v3, v47
	v_fma_f32 v19, v2, v46, -v1
	v_mul_f32_e32 v1, v2, v47
	s_waitcnt lgkmcnt(6)
	v_mul_f32_e32 v2, v59, v41
	v_fmac_f32_e32 v1, v3, v46
	v_fma_f32 v3, v58, v40, -v2
	v_mul_f32_e32 v2, v58, v41
	v_fmac_f32_e32 v2, v59, v40
	s_waitcnt vmcnt(1)
	v_mul_f32_e32 v137, v60, v49
	s_waitcnt vmcnt(0)
	v_mul_f32_e32 v6, v57, v53
	v_fma_f32 v132, v56, v52, -v6
	s_waitcnt lgkmcnt(4)
	v_mul_f32_e32 v6, v63, v55
	v_fma_f32 v134, v62, v54, -v6
	v_mul_f32_e32 v6, v61, v49
	v_fma_f32 v136, v60, v48, -v6
	s_waitcnt lgkmcnt(3)
	v_mul_f32_e32 v6, v67, v51
	v_fma_f32 v138, v66, v50, -v6
	v_mul_u32_u24_sdwa v6, v218, s3 dst_sel:DWORD dst_unused:UNUSED_PAD src0_sel:WORD_0 src1_sel:DWORD
	v_sub_u16_sdwa v7, v218, v6 dst_sel:DWORD dst_unused:UNUSED_PAD src0_sel:DWORD src1_sel:WORD_1
	v_lshrrev_b16_e32 v7, 1, v7
	v_add_u16_sdwa v6, v7, v6 dst_sel:DWORD dst_unused:UNUSED_PAD src0_sel:DWORD src1_sel:WORD_1
	v_lshrrev_b16_e32 v6, 6, v6
	v_mul_lo_u16_e32 v6, 0x7d, v6
	v_sub_u16_e32 v163, v218, v6
	v_lshlrev_b16_e32 v6, 5, v163
	v_add_co_u32_e32 v6, vcc, s10, v6
	v_mul_f32_e32 v133, v56, v53
	v_mul_f32_e32 v135, v62, v55
	v_addc_co_u32_e32 v7, vcc, 0, v220, vcc
	v_fmac_f32_e32 v133, v57, v52
	v_fmac_f32_e32 v135, v63, v54
	;; [unrolled: 1-line block ×3, first 2 shown]
	global_load_dwordx4 v[56:59], v[6:7], off offset:976
	global_load_dwordx4 v[60:63], v[6:7], off offset:960
	v_mul_f32_e32 v139, v66, v51
	v_fmac_f32_e32 v139, v67, v50
	s_waitcnt vmcnt(1)
	v_mul_f32_e32 v227, v68, v59
	s_waitcnt vmcnt(0) lgkmcnt(2)
	v_mul_f32_e32 v6, v125, v61
	v_fma_f32 v140, v124, v60, -v6
	v_mul_f32_e32 v6, v65, v63
	v_fma_f32 v142, v64, v62, -v6
	s_waitcnt lgkmcnt(1)
	v_mul_f32_e32 v6, v129, v57
	v_fma_f32 v224, v128, v56, -v6
	v_mul_f32_e32 v6, v69, v59
	v_fma_f32 v226, v68, v58, -v6
	v_mul_u32_u24_sdwa v6, v219, s3 dst_sel:DWORD dst_unused:UNUSED_PAD src0_sel:WORD_0 src1_sel:DWORD
	v_sub_u16_sdwa v7, v219, v6 dst_sel:DWORD dst_unused:UNUSED_PAD src0_sel:DWORD src1_sel:WORD_1
	v_lshrrev_b16_e32 v7, 1, v7
	v_add_u16_sdwa v6, v7, v6 dst_sel:DWORD dst_unused:UNUSED_PAD src0_sel:DWORD src1_sel:WORD_1
	v_lshrrev_b16_e32 v6, 6, v6
	v_mul_lo_u16_e32 v6, 0x7d, v6
	v_sub_u16_e32 v223, v219, v6
	v_lshlrev_b16_e32 v6, 5, v223
	v_add_co_u32_e32 v6, vcc, s10, v6
	v_mul_f32_e32 v143, v64, v63
	v_addc_co_u32_e32 v7, vcc, 0, v220, vcc
	v_fmac_f32_e32 v143, v65, v62
	v_fmac_f32_e32 v227, v69, v58
	global_load_dwordx4 v[64:67], v[6:7], off offset:976
	global_load_dwordx4 v[68:71], v[6:7], off offset:960
	v_mul_f32_e32 v141, v124, v61
	v_fmac_f32_e32 v141, v125, v60
	v_sub_f32_e32 v125, v10, v12
	v_mul_f32_e32 v225, v128, v57
	v_fmac_f32_e32 v225, v129, v56
	s_waitcnt vmcnt(0) lgkmcnt(0)
	s_barrier
	s_movk_i32 s3, 0x1360
	v_mul_f32_e32 v229, v130, v65
	v_mul_f32_e32 v124, v5, v71
	v_fma_f32 v228, v4, v70, -v124
	v_mul_f32_e32 v124, v9, v67
	v_fma_f32 v230, v8, v66, -v124
	v_mul_f32_e32 v8, v8, v67
	v_fmac_f32_e32 v8, v9, v66
	v_add_f32_e32 v9, v120, v10
	v_add_f32_e32 v9, v9, v12
	;; [unrolled: 1-line block ×5, first 2 shown]
	v_fma_f32 v146, -0.5, v9, v120
	v_mul_f32_e32 v6, v127, v69
	v_sub_f32_e32 v9, v11, v17
	v_mov_b32_e32 v154, v146
	v_fma_f32 v6, v126, v68, -v6
	v_mul_f32_e32 v7, v126, v69
	v_fmac_f32_e32 v154, 0x3f737871, v9
	v_sub_f32_e32 v124, v13, v15
	v_sub_f32_e32 v126, v16, v14
	v_fmac_f32_e32 v146, 0xbf737871, v9
	v_fmac_f32_e32 v154, 0x3f167918, v124
	v_add_f32_e32 v125, v125, v126
	v_fmac_f32_e32 v146, 0xbf167918, v124
	v_fmac_f32_e32 v154, 0x3e9e377a, v125
	;; [unrolled: 1-line block ×3, first 2 shown]
	v_add_f32_e32 v125, v10, v16
	v_fma_f32 v148, -0.5, v125, v120
	v_mov_b32_e32 v150, v148
	v_fmac_f32_e32 v150, 0xbf737871, v124
	v_fmac_f32_e32 v148, 0x3f737871, v124
	;; [unrolled: 1-line block ×4, first 2 shown]
	v_add_f32_e32 v9, v121, v11
	v_add_f32_e32 v9, v9, v13
	;; [unrolled: 1-line block ×5, first 2 shown]
	v_fma_f32 v147, -0.5, v9, v121
	v_sub_f32_e32 v9, v10, v16
	v_mov_b32_e32 v155, v147
	v_sub_f32_e32 v120, v12, v10
	v_sub_f32_e32 v125, v14, v16
	v_fmac_f32_e32 v155, 0xbf737871, v9
	v_sub_f32_e32 v10, v12, v14
	v_sub_f32_e32 v12, v11, v13
	;; [unrolled: 1-line block ×3, first 2 shown]
	v_fmac_f32_e32 v147, 0x3f737871, v9
	v_fmac_f32_e32 v155, 0xbf167918, v10
	v_add_f32_e32 v12, v12, v14
	v_fmac_f32_e32 v147, 0x3f167918, v10
	v_fmac_f32_e32 v155, 0x3e9e377a, v12
	;; [unrolled: 1-line block ×3, first 2 shown]
	v_add_f32_e32 v12, v11, v17
	v_fma_f32 v149, -0.5, v12, v121
	v_mov_b32_e32 v151, v149
	v_fmac_f32_e32 v151, 0x3f737871, v10
	v_fmac_f32_e32 v149, 0xbf737871, v10
	;; [unrolled: 1-line block ×4, first 2 shown]
	v_add_f32_e32 v9, v122, v18
	v_add_f32_e32 v9, v9, v19
	;; [unrolled: 1-line block ×5, first 2 shown]
	v_sub_f32_e32 v11, v13, v11
	v_sub_f32_e32 v12, v15, v17
	v_fma_f32 v144, -0.5, v9, v122
	v_add_f32_e32 v11, v11, v12
	v_sub_f32_e32 v9, v0, v115
	v_mov_b32_e32 v158, v144
	v_fmac_f32_e32 v151, 0x3e9e377a, v11
	v_fmac_f32_e32 v149, 0x3e9e377a, v11
	;; [unrolled: 1-line block ×3, first 2 shown]
	v_sub_f32_e32 v10, v1, v2
	v_sub_f32_e32 v11, v18, v19
	;; [unrolled: 1-line block ×3, first 2 shown]
	v_fmac_f32_e32 v144, 0xbf737871, v9
	v_fmac_f32_e32 v158, 0x3f167918, v10
	v_add_f32_e32 v11, v11, v12
	v_fmac_f32_e32 v144, 0xbf167918, v10
	v_fmac_f32_e32 v158, 0x3e9e377a, v11
	;; [unrolled: 1-line block ×3, first 2 shown]
	v_add_f32_e32 v11, v18, v114
	v_fma_f32 v122, -0.5, v11, v122
	v_mov_b32_e32 v160, v122
	v_fmac_f32_e32 v160, 0xbf737871, v10
	v_fmac_f32_e32 v122, 0x3f737871, v10
	;; [unrolled: 1-line block ×4, first 2 shown]
	v_add_f32_e32 v9, v123, v0
	v_add_f32_e32 v9, v9, v1
	;; [unrolled: 1-line block ×5, first 2 shown]
	v_sub_f32_e32 v11, v19, v18
	v_sub_f32_e32 v12, v3, v114
	v_fma_f32 v145, -0.5, v9, v123
	v_add_f32_e32 v11, v11, v12
	v_sub_f32_e32 v9, v18, v114
	v_mov_b32_e32 v159, v145
	v_fmac_f32_e32 v160, 0x3e9e377a, v11
	v_fmac_f32_e32 v122, 0x3e9e377a, v11
	;; [unrolled: 1-line block ×3, first 2 shown]
	v_sub_f32_e32 v3, v19, v3
	v_sub_f32_e32 v10, v0, v1
	;; [unrolled: 1-line block ×3, first 2 shown]
	v_fmac_f32_e32 v145, 0x3f737871, v9
	v_fmac_f32_e32 v159, 0xbf167918, v3
	v_add_f32_e32 v10, v10, v11
	v_fmac_f32_e32 v145, 0x3f167918, v3
	v_fmac_f32_e32 v159, 0x3e9e377a, v10
	;; [unrolled: 1-line block ×3, first 2 shown]
	v_add_f32_e32 v10, v0, v115
	v_fmac_f32_e32 v123, -0.5, v10
	v_mov_b32_e32 v161, v123
	v_fmac_f32_e32 v161, 0x3f737871, v3
	v_sub_f32_e32 v0, v1, v0
	v_sub_f32_e32 v1, v2, v115
	v_fmac_f32_e32 v123, 0xbf737871, v3
	v_fmac_f32_e32 v161, 0xbf167918, v9
	v_add_f32_e32 v0, v0, v1
	v_fmac_f32_e32 v123, 0x3f167918, v9
	v_fmac_f32_e32 v161, 0x3e9e377a, v0
	;; [unrolled: 1-line block ×3, first 2 shown]
	v_add_f32_e32 v0, v116, v132
	v_add_f32_e32 v0, v0, v134
	v_add_f32_e32 v120, v120, v125
	v_add_f32_e32 v0, v0, v136
	v_fmac_f32_e32 v150, 0x3e9e377a, v120
	v_fmac_f32_e32 v148, 0x3e9e377a, v120
	v_add_f32_e32 v120, v0, v138
	v_add_f32_e32 v0, v134, v136
	v_fma_f32 v114, -0.5, v0, v116
	v_sub_f32_e32 v0, v133, v139
	v_mov_b32_e32 v124, v114
	v_fmac_f32_e32 v124, 0x3f737871, v0
	v_sub_f32_e32 v1, v135, v137
	v_sub_f32_e32 v2, v132, v134
	;; [unrolled: 1-line block ×3, first 2 shown]
	v_fmac_f32_e32 v114, 0xbf737871, v0
	v_fmac_f32_e32 v124, 0x3f167918, v1
	v_add_f32_e32 v2, v2, v3
	v_fmac_f32_e32 v114, 0xbf167918, v1
	v_fmac_f32_e32 v124, 0x3e9e377a, v2
	;; [unrolled: 1-line block ×3, first 2 shown]
	v_add_f32_e32 v2, v132, v138
	v_fma_f32 v116, -0.5, v2, v116
	v_mov_b32_e32 v126, v116
	v_fmac_f32_e32 v126, 0xbf737871, v1
	v_fmac_f32_e32 v116, 0x3f737871, v1
	;; [unrolled: 1-line block ×4, first 2 shown]
	v_add_f32_e32 v0, v117, v133
	v_add_f32_e32 v0, v0, v135
	;; [unrolled: 1-line block ×5, first 2 shown]
	v_sub_f32_e32 v2, v134, v132
	v_sub_f32_e32 v3, v136, v138
	v_fma_f32 v115, -0.5, v0, v117
	v_add_f32_e32 v2, v2, v3
	v_sub_f32_e32 v0, v132, v138
	v_mov_b32_e32 v125, v115
	v_fmac_f32_e32 v126, 0x3e9e377a, v2
	v_fmac_f32_e32 v116, 0x3e9e377a, v2
	;; [unrolled: 1-line block ×3, first 2 shown]
	v_sub_f32_e32 v1, v134, v136
	v_sub_f32_e32 v2, v133, v135
	;; [unrolled: 1-line block ×3, first 2 shown]
	v_fmac_f32_e32 v115, 0x3f737871, v0
	v_fmac_f32_e32 v125, 0xbf167918, v1
	v_add_f32_e32 v2, v2, v3
	v_fmac_f32_e32 v115, 0x3f167918, v1
	v_fmac_f32_e32 v125, 0x3e9e377a, v2
	;; [unrolled: 1-line block ×3, first 2 shown]
	v_add_f32_e32 v2, v133, v139
	v_fma_f32 v117, -0.5, v2, v117
	v_fmac_f32_e32 v7, v127, v68
	v_mov_b32_e32 v127, v117
	v_fmac_f32_e32 v127, 0x3f737871, v1
	v_fmac_f32_e32 v117, 0xbf737871, v1
	;; [unrolled: 1-line block ×4, first 2 shown]
	v_add_f32_e32 v0, v118, v140
	v_mul_f32_e32 v4, v4, v71
	v_add_f32_e32 v0, v0, v142
	v_fmac_f32_e32 v4, v5, v70
	v_mul_f32_e32 v5, v131, v65
	v_add_f32_e32 v0, v0, v224
	v_fma_f32 v5, v130, v64, -v5
	v_add_f32_e32 v130, v0, v226
	v_add_f32_e32 v0, v142, v224
	v_sub_f32_e32 v2, v135, v133
	v_sub_f32_e32 v3, v137, v139
	v_fma_f32 v128, -0.5, v0, v118
	v_add_f32_e32 v2, v2, v3
	v_sub_f32_e32 v0, v141, v227
	v_mov_b32_e32 v132, v128
	v_fmac_f32_e32 v127, 0x3e9e377a, v2
	v_fmac_f32_e32 v117, 0x3e9e377a, v2
	;; [unrolled: 1-line block ×3, first 2 shown]
	v_sub_f32_e32 v1, v143, v225
	v_sub_f32_e32 v2, v140, v142
	;; [unrolled: 1-line block ×3, first 2 shown]
	v_fmac_f32_e32 v128, 0xbf737871, v0
	v_fmac_f32_e32 v132, 0x3f167918, v1
	v_add_f32_e32 v2, v2, v3
	v_fmac_f32_e32 v128, 0xbf167918, v1
	v_fmac_f32_e32 v132, 0x3e9e377a, v2
	;; [unrolled: 1-line block ×3, first 2 shown]
	v_add_f32_e32 v2, v140, v226
	v_fma_f32 v118, -0.5, v2, v118
	v_mov_b32_e32 v134, v118
	v_fmac_f32_e32 v134, 0xbf737871, v1
	v_fmac_f32_e32 v118, 0x3f737871, v1
	;; [unrolled: 1-line block ×4, first 2 shown]
	v_add_f32_e32 v0, v119, v141
	v_add_f32_e32 v0, v0, v143
	v_add_f32_e32 v0, v0, v225
	v_fmac_f32_e32 v229, v131, v64
	v_add_f32_e32 v131, v0, v227
	v_add_f32_e32 v0, v143, v225
	v_sub_f32_e32 v2, v142, v140
	v_sub_f32_e32 v3, v224, v226
	v_fma_f32 v129, -0.5, v0, v119
	v_add_f32_e32 v2, v2, v3
	v_sub_f32_e32 v0, v140, v226
	v_mov_b32_e32 v133, v129
	v_fmac_f32_e32 v134, 0x3e9e377a, v2
	v_fmac_f32_e32 v118, 0x3e9e377a, v2
	;; [unrolled: 1-line block ×3, first 2 shown]
	v_sub_f32_e32 v1, v142, v224
	v_sub_f32_e32 v2, v141, v143
	;; [unrolled: 1-line block ×3, first 2 shown]
	v_fmac_f32_e32 v129, 0x3f737871, v0
	v_fmac_f32_e32 v133, 0xbf167918, v1
	v_add_f32_e32 v2, v2, v3
	v_fmac_f32_e32 v129, 0x3f167918, v1
	v_fmac_f32_e32 v133, 0x3e9e377a, v2
	;; [unrolled: 1-line block ×3, first 2 shown]
	v_add_f32_e32 v2, v141, v227
	v_fmac_f32_e32 v119, -0.5, v2
	v_mov_b32_e32 v135, v119
	v_fmac_f32_e32 v135, 0x3f737871, v1
	v_fmac_f32_e32 v119, 0xbf737871, v1
	;; [unrolled: 1-line block ×4, first 2 shown]
	v_add_f32_e32 v0, v112, v6
	v_add_f32_e32 v0, v0, v228
	;; [unrolled: 1-line block ×5, first 2 shown]
	v_sub_f32_e32 v2, v143, v141
	v_sub_f32_e32 v3, v225, v227
	v_fma_f32 v136, -0.5, v0, v112
	v_add_f32_e32 v2, v2, v3
	v_sub_f32_e32 v0, v7, v8
	v_mov_b32_e32 v140, v136
	v_fmac_f32_e32 v135, 0x3e9e377a, v2
	v_fmac_f32_e32 v119, 0x3e9e377a, v2
	;; [unrolled: 1-line block ×3, first 2 shown]
	v_sub_f32_e32 v1, v4, v229
	v_sub_f32_e32 v2, v6, v228
	;; [unrolled: 1-line block ×3, first 2 shown]
	v_fmac_f32_e32 v136, 0xbf737871, v0
	v_fmac_f32_e32 v140, 0x3f167918, v1
	v_add_f32_e32 v2, v2, v3
	v_fmac_f32_e32 v136, 0xbf167918, v1
	v_fmac_f32_e32 v140, 0x3e9e377a, v2
	;; [unrolled: 1-line block ×3, first 2 shown]
	v_add_f32_e32 v2, v6, v230
	v_fma_f32 v112, -0.5, v2, v112
	v_mov_b32_e32 v142, v112
	v_fmac_f32_e32 v142, 0xbf737871, v1
	v_fmac_f32_e32 v112, 0x3f737871, v1
	;; [unrolled: 1-line block ×4, first 2 shown]
	v_add_f32_e32 v0, v113, v7
	v_add_f32_e32 v0, v0, v4
	;; [unrolled: 1-line block ×5, first 2 shown]
	v_sub_f32_e32 v2, v228, v6
	v_sub_f32_e32 v3, v5, v230
	v_fma_f32 v137, -0.5, v0, v113
	v_add_f32_e32 v2, v2, v3
	v_sub_f32_e32 v0, v6, v230
	v_mov_b32_e32 v141, v137
	v_fmac_f32_e32 v142, 0x3e9e377a, v2
	v_fmac_f32_e32 v112, 0x3e9e377a, v2
	v_fmac_f32_e32 v141, 0xbf737871, v0
	v_sub_f32_e32 v1, v228, v5
	v_sub_f32_e32 v2, v7, v4
	;; [unrolled: 1-line block ×3, first 2 shown]
	v_fmac_f32_e32 v137, 0x3f737871, v0
	v_fmac_f32_e32 v141, 0xbf167918, v1
	v_add_f32_e32 v2, v2, v3
	v_fmac_f32_e32 v137, 0x3f167918, v1
	v_fmac_f32_e32 v141, 0x3e9e377a, v2
	;; [unrolled: 1-line block ×3, first 2 shown]
	v_add_f32_e32 v2, v7, v8
	v_fmac_f32_e32 v113, -0.5, v2
	v_mov_b32_e32 v143, v113
	v_fmac_f32_e32 v143, 0x3f737871, v1
	v_fmac_f32_e32 v113, 0xbf737871, v1
	;; [unrolled: 1-line block ×4, first 2 shown]
	v_lshlrev_b32_e32 v0, 3, v162
	v_add_u32_e32 v1, 0x2400, v0
	ds_write2_b64 v254, v[152:153], v[154:155] offset1:125
	ds_write2_b64 v166, v[150:151], v[148:149] offset0:122 offset1:247
	ds_write2_b64 v236, v[146:147], v[156:157] offset0:116 offset1:241
	;; [unrolled: 1-line block ×4, first 2 shown]
	buffer_store_dword v1, off, s[24:27], 0 offset:168 ; 4-byte Folded Spill
	ds_write2_b64 v1, v[120:121], v[124:125] offset0:98 offset1:223
	v_add_u32_e32 v1, 0x2c00, v0
	buffer_store_dword v0, off, s[24:27], 0 offset:172 ; 4-byte Folded Spill
	buffer_store_dword v1, off, s[24:27], 0 offset:176 ; 4-byte Folded Spill
	ds_write2_b64 v1, v[126:127], v[116:117] offset0:92 offset1:217
	ds_write_b64 v0, v[114:115] offset:14000
	v_lshlrev_b32_e32 v0, 3, v163
	v_add_u32_e32 v1, 0x3800, v0
	buffer_store_dword v1, off, s[24:27], 0 offset:180 ; 4-byte Folded Spill
	ds_write2_b64 v1, v[130:131], v[132:133] offset0:83 offset1:208
	v_add_u32_e32 v1, 0x4000, v0
	v_add_co_u32_e32 v5, vcc, s3, v221
	v_sub_f32_e32 v2, v4, v7
	v_sub_f32_e32 v3, v229, v8
	buffer_store_dword v0, off, s[24:27], 0 offset:184 ; 4-byte Folded Spill
	buffer_store_dword v1, off, s[24:27], 0 offset:188 ; 4-byte Folded Spill
	ds_write2_b64 v1, v[134:135], v[118:119] offset0:77 offset1:202
	ds_write_b64 v0, v[128:129] offset:19000
	v_lshlrev_b32_e32 v0, 3, v223
	v_addc_co_u32_e32 v6, vcc, 0, v222, vcc
	v_add_f32_e32 v2, v2, v3
	v_add_u32_e32 v1, 0x4c00, v0
	v_add_co_u32_e32 v10, vcc, s2, v221
	v_fmac_f32_e32 v143, 0x3e9e377a, v2
	v_fmac_f32_e32 v113, 0x3e9e377a, v2
	buffer_store_dword v1, off, s[24:27], 0 offset:192 ; 4-byte Folded Spill
	ds_write2_b64 v1, v[138:139], v[140:141] offset0:68 offset1:193
	v_add_u32_e32 v1, 0x5400, v0
	v_addc_co_u32_e32 v11, vcc, 0, v222, vcc
	buffer_store_dword v0, off, s[24:27], 0 offset:196 ; 4-byte Folded Spill
	buffer_store_dword v1, off, s[24:27], 0 offset:200 ; 4-byte Folded Spill
	ds_write2_b64 v1, v[142:143], v[112:113] offset0:62 offset1:187
	ds_write_b64 v0, v[136:137] offset:24000
	s_waitcnt vmcnt(0) lgkmcnt(0)
	s_barrier
	ds_read2_b64 v[160:163], v254 offset1:125
	ds_read2_b64 v[152:155], v236 offset0:116 offset1:241
	ds_read2_b64 v[1:4], v235 offset0:98 offset1:223
	;; [unrolled: 1-line block ×11, first 2 shown]
	ds_read_b64 v[8:9], v254 offset:24000
	global_load_dwordx4 v[116:119], v[10:11], off offset:864
	global_load_dwordx4 v[112:115], v[5:6], off offset:16
	s_waitcnt vmcnt(1) lgkmcnt(11)
	v_mul_f32_e32 v0, v155, v117
	v_fma_f32 v221, v154, v116, -v0
	s_waitcnt lgkmcnt(10)
	v_mul_f32_e32 v0, v2, v119
	v_fma_f32 v223, v1, v118, -v0
	s_waitcnt vmcnt(0) lgkmcnt(9)
	v_mul_f32_e32 v0, v229, v113
	v_fma_f32 v225, v228, v112, -v0
	s_waitcnt lgkmcnt(8)
	v_mul_f32_e32 v0, v127, v115
	v_mul_f32_e32 v154, v154, v117
	v_fma_f32 v12, v126, v114, -v0
	v_lshlrev_b32_e32 v0, 5, v216
	v_fmac_f32_e32 v154, v155, v116
	v_mul_f32_e32 v155, v1, v119
	v_add_co_u32_e32 v0, vcc, s10, v0
	v_fmac_f32_e32 v155, v2, v118
	v_addc_co_u32_e32 v2, vcc, 0, v220, vcc
	v_add_co_u32_e32 v5, vcc, s3, v0
	v_addc_co_u32_e32 v6, vcc, 0, v2, vcc
	v_add_co_u32_e32 v10, vcc, s2, v0
	v_mul_f32_e32 v1, v126, v115
	v_addc_co_u32_e32 v11, vcc, 0, v2, vcc
	v_fmac_f32_e32 v1, v127, v114
	global_load_dwordx4 v[124:127], v[10:11], off offset:864
	global_load_dwordx4 v[120:123], v[5:6], off offset:16
	v_mul_f32_e32 v228, v228, v113
	v_fmac_f32_e32 v228, v229, v112
	s_waitcnt vmcnt(1) lgkmcnt(7)
	v_mul_f32_e32 v0, v135, v125
	v_fma_f32 v229, v134, v124, -v0
	v_mul_f32_e32 v0, v4, v127
	v_fma_f32 v230, v3, v126, -v0
	s_waitcnt vmcnt(0) lgkmcnt(6)
	v_mul_f32_e32 v0, v139, v121
	v_fma_f32 v232, v138, v120, -v0
	v_mul_f32_e32 v0, v129, v123
	v_fma_f32 v13, v128, v122, -v0
	v_lshlrev_b32_e32 v0, 5, v217
	v_add_co_u32_e32 v0, vcc, s10, v0
	v_addc_co_u32_e32 v7, vcc, 0, v220, vcc
	v_mul_f32_e32 v5, v3, v127
	v_add_co_u32_e32 v3, vcc, s3, v0
	v_fmac_f32_e32 v5, v4, v126
	v_addc_co_u32_e32 v4, vcc, 0, v7, vcc
	v_add_co_u32_e32 v10, vcc, s2, v0
	v_mul_f32_e32 v2, v134, v125
	v_mul_f32_e32 v231, v128, v123
	v_addc_co_u32_e32 v11, vcc, 0, v7, vcc
	v_fmac_f32_e32 v2, v135, v124
	v_fmac_f32_e32 v231, v129, v122
	global_load_dwordx4 v[132:135], v[10:11], off offset:864
	global_load_dwordx4 v[128:131], v[3:4], off offset:16
	v_mul_f32_e32 v6, v138, v121
	v_fmac_f32_e32 v6, v139, v120
	s_waitcnt vmcnt(1)
	v_mul_f32_e32 v0, v137, v133
	v_fma_f32 v14, v136, v132, -v0
	s_waitcnt lgkmcnt(4)
	v_mul_f32_e32 v0, v147, v135
	v_fma_f32 v15, v146, v134, -v0
	s_waitcnt vmcnt(0)
	v_mul_f32_e32 v0, v141, v129
	v_fma_f32 v16, v140, v128, -v0
	s_waitcnt lgkmcnt(3)
	v_mul_f32_e32 v0, v236, v131
	v_fma_f32 v18, v235, v130, -v0
	v_lshlrev_b32_e32 v0, 5, v218
	v_add_co_u32_e32 v0, vcc, s10, v0
	v_addc_co_u32_e32 v7, vcc, 0, v220, vcc
	v_add_co_u32_e32 v3, vcc, s3, v0
	v_addc_co_u32_e32 v4, vcc, 0, v7, vcc
	v_add_co_u32_e32 v10, vcc, s2, v0
	v_mul_f32_e32 v233, v136, v133
	v_mul_f32_e32 v234, v146, v135
	v_addc_co_u32_e32 v11, vcc, 0, v7, vcc
	v_fmac_f32_e32 v233, v137, v132
	v_fmac_f32_e32 v234, v147, v134
	global_load_dwordx4 v[144:147], v[10:11], off offset:864
	global_load_dwordx4 v[136:139], v[3:4], off offset:16
	v_mul_f32_e32 v19, v235, v131
	v_mul_f32_e32 v17, v140, v129
	v_fmac_f32_e32 v17, v141, v128
	v_fmac_f32_e32 v19, v236, v130
	s_waitcnt vmcnt(1) lgkmcnt(2)
	v_mul_f32_e32 v0, v240, v145
	v_fma_f32 v235, v239, v144, -v0
	v_mul_f32_e32 v0, v149, v147
	v_fma_f32 v216, v148, v146, -v0
	s_waitcnt vmcnt(0) lgkmcnt(1)
	v_mul_f32_e32 v0, v249, v137
	v_fma_f32 v217, v248, v136, -v0
	v_mul_f32_e32 v0, v238, v139
	v_mul_f32_e32 v244, v239, v145
	v_fma_f32 v239, v237, v138, -v0
	v_lshlrev_b32_e32 v0, 5, v219
	v_add_co_u32_e32 v0, vcc, s10, v0
	v_addc_co_u32_e32 v7, vcc, 0, v220, vcc
	v_add_co_u32_e32 v3, vcc, s3, v0
	v_addc_co_u32_e32 v4, vcc, 0, v7, vcc
	v_add_co_u32_e32 v10, vcc, s2, v0
	v_mul_f32_e32 v245, v148, v147
	v_addc_co_u32_e32 v11, vcc, 0, v7, vcc
	v_fmac_f32_e32 v245, v149, v146
	global_load_dwordx4 v[148:151], v[10:11], off offset:864
	global_load_dwordx4 v[140:143], v[3:4], off offset:16
	v_mul_f32_e32 v246, v248, v137
	v_fmac_f32_e32 v246, v249, v136
	v_sub_f32_e32 v10, v155, v228
	v_sub_f32_e32 v11, v221, v223
	;; [unrolled: 1-line block ×3, first 2 shown]
	v_add_f32_e32 v11, v11, v219
	v_fmac_f32_e32 v244, v240, v144
	v_mul_f32_e32 v248, v237, v139
	v_fmac_f32_e32 v248, v238, v138
	s_movk_i32 s2, 0x61a8
	s_waitcnt vmcnt(1)
	v_mul_f32_e32 v3, v227, v151
	v_fma_f32 v249, v226, v150, -v3
	v_mul_f32_e32 v3, v226, v151
	s_waitcnt vmcnt(0) lgkmcnt(0)
	v_mul_f32_e32 v226, v8, v143
	v_mul_f32_e32 v7, v9, v143
	v_fmac_f32_e32 v226, v9, v142
	v_add_f32_e32 v9, v223, v225
	v_fma_f32 v218, -0.5, v9, v160
	v_sub_f32_e32 v9, v154, v1
	v_mov_b32_e32 v220, v218
	v_fmac_f32_e32 v220, 0x3f737871, v9
	v_fmac_f32_e32 v218, 0xbf737871, v9
	;; [unrolled: 1-line block ×6, first 2 shown]
	v_add_f32_e32 v11, v221, v12
	v_fma_f32 v222, -0.5, v11, v160
	v_mov_b32_e32 v224, v222
	v_fma_f32 v7, v8, v142, -v7
	v_add_f32_e32 v8, v160, v221
	v_fmac_f32_e32 v224, 0xbf737871, v10
	v_fmac_f32_e32 v222, 0x3f737871, v10
	v_add_f32_e32 v10, v155, v228
	v_add_f32_e32 v8, v8, v223
	v_sub_f32_e32 v11, v223, v221
	v_sub_f32_e32 v160, v225, v12
	v_fma_f32 v219, -0.5, v10, v161
	v_add_f32_e32 v8, v8, v225
	v_fmac_f32_e32 v224, 0x3f167918, v9
	v_add_f32_e32 v11, v11, v160
	v_fmac_f32_e32 v222, 0xbf167918, v9
	v_sub_f32_e32 v10, v221, v12
	v_mov_b32_e32 v221, v219
	v_add_f32_e32 v8, v8, v12
	v_fmac_f32_e32 v224, 0x3e9e377a, v11
	v_fmac_f32_e32 v222, 0x3e9e377a, v11
	;; [unrolled: 1-line block ×3, first 2 shown]
	v_sub_f32_e32 v11, v223, v225
	v_sub_f32_e32 v12, v154, v155
	;; [unrolled: 1-line block ×3, first 2 shown]
	v_fmac_f32_e32 v219, 0x3f737871, v10
	v_fmac_f32_e32 v221, 0xbf167918, v11
	v_add_f32_e32 v12, v12, v160
	v_fmac_f32_e32 v219, 0x3f167918, v11
	v_add_f32_e32 v9, v161, v154
	v_fmac_f32_e32 v221, 0x3e9e377a, v12
	v_fmac_f32_e32 v219, 0x3e9e377a, v12
	v_add_f32_e32 v12, v154, v1
	v_add_f32_e32 v9, v9, v155
	v_fma_f32 v223, -0.5, v12, v161
	v_add_f32_e32 v9, v9, v228
	v_mov_b32_e32 v225, v223
	v_add_f32_e32 v9, v9, v1
	v_fmac_f32_e32 v225, 0x3f737871, v11
	v_sub_f32_e32 v12, v155, v154
	v_sub_f32_e32 v1, v228, v1
	v_fmac_f32_e32 v223, 0xbf737871, v11
	v_fmac_f32_e32 v225, 0xbf167918, v10
	v_add_f32_e32 v1, v12, v1
	v_fmac_f32_e32 v223, 0x3f167918, v10
	v_fmac_f32_e32 v225, 0x3e9e377a, v1
	;; [unrolled: 1-line block ×3, first 2 shown]
	v_add_f32_e32 v1, v162, v229
	v_add_f32_e32 v1, v1, v230
	;; [unrolled: 1-line block ×5, first 2 shown]
	v_fma_f32 v160, -0.5, v1, v162
	v_sub_f32_e32 v1, v2, v231
	v_mov_b32_e32 v240, v160
	v_fmac_f32_e32 v240, 0x3f737871, v1
	v_sub_f32_e32 v11, v5, v6
	v_sub_f32_e32 v12, v229, v230
	;; [unrolled: 1-line block ×3, first 2 shown]
	v_fmac_f32_e32 v160, 0xbf737871, v1
	v_fmac_f32_e32 v240, 0x3f167918, v11
	v_add_f32_e32 v12, v12, v154
	v_fmac_f32_e32 v160, 0xbf167918, v11
	v_mul_f32_e32 v0, v242, v149
	v_fmac_f32_e32 v240, 0x3e9e377a, v12
	v_fmac_f32_e32 v160, 0x3e9e377a, v12
	v_add_f32_e32 v12, v229, v13
	v_fma_f32 v247, v241, v148, -v0
	v_mul_f32_e32 v0, v241, v149
	v_fma_f32 v162, -0.5, v12, v162
	v_fmac_f32_e32 v0, v242, v148
	v_mov_b32_e32 v242, v162
	v_fmac_f32_e32 v242, 0xbf737871, v11
	v_fmac_f32_e32 v162, 0x3f737871, v11
	;; [unrolled: 1-line block ×4, first 2 shown]
	v_add_f32_e32 v1, v163, v2
	v_add_f32_e32 v1, v1, v5
	;; [unrolled: 1-line block ×5, first 2 shown]
	v_sub_f32_e32 v12, v230, v229
	v_sub_f32_e32 v154, v232, v13
	v_fma_f32 v161, -0.5, v1, v163
	v_add_f32_e32 v12, v12, v154
	v_sub_f32_e32 v1, v229, v13
	v_mov_b32_e32 v241, v161
	v_fmac_f32_e32 v242, 0x3e9e377a, v12
	v_fmac_f32_e32 v162, 0x3e9e377a, v12
	;; [unrolled: 1-line block ×3, first 2 shown]
	v_sub_f32_e32 v12, v230, v232
	v_sub_f32_e32 v13, v2, v5
	;; [unrolled: 1-line block ×3, first 2 shown]
	v_fmac_f32_e32 v161, 0x3f737871, v1
	v_fmac_f32_e32 v241, 0xbf167918, v12
	v_add_f32_e32 v13, v13, v154
	v_fmac_f32_e32 v161, 0x3f167918, v12
	v_fmac_f32_e32 v241, 0x3e9e377a, v13
	;; [unrolled: 1-line block ×3, first 2 shown]
	v_add_f32_e32 v13, v2, v231
	v_fmac_f32_e32 v163, -0.5, v13
	v_mov_b32_e32 v243, v163
	v_fmac_f32_e32 v243, 0x3f737871, v12
	v_sub_f32_e32 v2, v5, v2
	v_sub_f32_e32 v5, v6, v231
	v_fmac_f32_e32 v163, 0xbf737871, v12
	v_fmac_f32_e32 v243, 0xbf167918, v1
	v_add_f32_e32 v2, v2, v5
	v_fmac_f32_e32 v163, 0x3f167918, v1
	v_fmac_f32_e32 v243, 0x3e9e377a, v2
	;; [unrolled: 1-line block ×3, first 2 shown]
	v_add_f32_e32 v2, v15, v16
	v_mul_f32_e32 v4, v251, v141
	v_fma_f32 v228, -0.5, v2, v156
	v_fmac_f32_e32 v3, v227, v150
	v_fma_f32 v4, v250, v140, -v4
	v_mul_f32_e32 v227, v250, v141
	v_sub_f32_e32 v2, v233, v19
	v_mov_b32_e32 v250, v228
	v_fmac_f32_e32 v250, 0x3f737871, v2
	v_sub_f32_e32 v5, v234, v17
	v_sub_f32_e32 v6, v14, v15
	;; [unrolled: 1-line block ×3, first 2 shown]
	v_fmac_f32_e32 v228, 0xbf737871, v2
	v_fmac_f32_e32 v250, 0x3f167918, v5
	v_add_f32_e32 v6, v6, v12
	v_fmac_f32_e32 v228, 0xbf167918, v5
	v_fmac_f32_e32 v250, 0x3e9e377a, v6
	;; [unrolled: 1-line block ×3, first 2 shown]
	v_add_f32_e32 v6, v14, v18
	v_fma_f32 v230, -0.5, v6, v156
	v_mov_b32_e32 v252, v230
	v_fmac_f32_e32 v252, 0xbf737871, v5
	v_fmac_f32_e32 v230, 0x3f737871, v5
	v_add_f32_e32 v5, v234, v17
	v_sub_f32_e32 v6, v15, v14
	v_sub_f32_e32 v12, v16, v18
	v_fma_f32 v229, -0.5, v5, v157
	v_fmac_f32_e32 v227, v251, v140
	v_fmac_f32_e32 v252, 0x3f167918, v2
	v_add_f32_e32 v6, v6, v12
	v_fmac_f32_e32 v230, 0xbf167918, v2
	v_sub_f32_e32 v5, v14, v18
	v_mov_b32_e32 v251, v229
	v_fmac_f32_e32 v252, 0x3e9e377a, v6
	v_fmac_f32_e32 v230, 0x3e9e377a, v6
	;; [unrolled: 1-line block ×3, first 2 shown]
	v_sub_f32_e32 v6, v15, v16
	v_sub_f32_e32 v12, v233, v234
	;; [unrolled: 1-line block ×3, first 2 shown]
	v_fmac_f32_e32 v229, 0x3f737871, v5
	v_fmac_f32_e32 v251, 0xbf167918, v6
	v_add_f32_e32 v12, v12, v13
	v_fmac_f32_e32 v229, 0x3f167918, v6
	v_fmac_f32_e32 v251, 0x3e9e377a, v12
	;; [unrolled: 1-line block ×3, first 2 shown]
	v_add_f32_e32 v12, v233, v19
	v_fma_f32 v231, -0.5, v12, v157
	v_mov_b32_e32 v253, v231
	v_fmac_f32_e32 v253, 0x3f737871, v6
	v_fmac_f32_e32 v231, 0xbf737871, v6
	;; [unrolled: 1-line block ×4, first 2 shown]
	v_add_f32_e32 v5, v158, v235
	v_add_f32_e32 v5, v5, v216
	;; [unrolled: 1-line block ×6, first 2 shown]
	v_sub_f32_e32 v12, v234, v233
	v_sub_f32_e32 v13, v17, v19
	v_fma_f32 v154, -0.5, v5, v158
	v_add_f32_e32 v2, v2, v234
	v_add_f32_e32 v12, v12, v13
	v_sub_f32_e32 v5, v244, v248
	v_mov_b32_e32 v234, v154
	v_fmac_f32_e32 v253, 0x3e9e377a, v12
	v_fmac_f32_e32 v231, 0x3e9e377a, v12
	;; [unrolled: 1-line block ×3, first 2 shown]
	v_sub_f32_e32 v6, v245, v246
	v_sub_f32_e32 v12, v235, v216
	;; [unrolled: 1-line block ×3, first 2 shown]
	v_fmac_f32_e32 v154, 0xbf737871, v5
	v_fmac_f32_e32 v234, 0x3f167918, v6
	v_add_f32_e32 v12, v12, v13
	v_fmac_f32_e32 v154, 0xbf167918, v6
	v_fmac_f32_e32 v234, 0x3e9e377a, v12
	;; [unrolled: 1-line block ×3, first 2 shown]
	v_add_f32_e32 v12, v235, v239
	v_fma_f32 v158, -0.5, v12, v158
	v_mov_b32_e32 v236, v158
	v_fmac_f32_e32 v236, 0xbf737871, v6
	v_fmac_f32_e32 v158, 0x3f737871, v6
	;; [unrolled: 1-line block ×4, first 2 shown]
	v_add_f32_e32 v5, v159, v244
	v_add_f32_e32 v5, v5, v245
	;; [unrolled: 1-line block ×5, first 2 shown]
	v_sub_f32_e32 v12, v216, v235
	v_sub_f32_e32 v13, v217, v239
	v_fma_f32 v155, -0.5, v5, v159
	v_add_f32_e32 v12, v12, v13
	v_sub_f32_e32 v5, v235, v239
	v_mov_b32_e32 v235, v155
	v_fmac_f32_e32 v236, 0x3e9e377a, v12
	v_fmac_f32_e32 v158, 0x3e9e377a, v12
	;; [unrolled: 1-line block ×3, first 2 shown]
	v_sub_f32_e32 v6, v216, v217
	v_sub_f32_e32 v12, v244, v245
	v_sub_f32_e32 v13, v248, v246
	v_fmac_f32_e32 v155, 0x3f737871, v5
	v_fmac_f32_e32 v235, 0xbf167918, v6
	v_add_f32_e32 v12, v12, v13
	v_fmac_f32_e32 v155, 0x3f167918, v6
	v_fmac_f32_e32 v235, 0x3e9e377a, v12
	;; [unrolled: 1-line block ×3, first 2 shown]
	v_add_f32_e32 v12, v244, v248
	v_fmac_f32_e32 v159, -0.5, v12
	v_mov_b32_e32 v237, v159
	v_fmac_f32_e32 v237, 0x3f737871, v6
	v_fmac_f32_e32 v159, 0xbf737871, v6
	;; [unrolled: 1-line block ×4, first 2 shown]
	v_add_f32_e32 v5, v152, v247
	v_add_f32_e32 v5, v5, v249
	;; [unrolled: 1-line block ×3, first 2 shown]
	v_sub_f32_e32 v12, v245, v244
	v_add_f32_e32 v244, v5, v7
	v_add_f32_e32 v5, v249, v4
	;; [unrolled: 1-line block ×3, first 2 shown]
	v_sub_f32_e32 v13, v246, v248
	v_fma_f32 v156, -0.5, v5, v152
	v_add_f32_e32 v12, v12, v13
	v_sub_f32_e32 v5, v0, v226
	v_mov_b32_e32 v246, v156
	v_fmac_f32_e32 v237, 0x3e9e377a, v12
	v_fmac_f32_e32 v159, 0x3e9e377a, v12
	;; [unrolled: 1-line block ×3, first 2 shown]
	v_sub_f32_e32 v6, v3, v227
	v_sub_f32_e32 v12, v247, v249
	;; [unrolled: 1-line block ×3, first 2 shown]
	v_fmac_f32_e32 v156, 0xbf737871, v5
	v_fmac_f32_e32 v246, 0x3f167918, v6
	v_add_f32_e32 v12, v12, v13
	v_fmac_f32_e32 v156, 0xbf167918, v6
	v_fmac_f32_e32 v246, 0x3e9e377a, v12
	;; [unrolled: 1-line block ×3, first 2 shown]
	v_add_f32_e32 v12, v247, v7
	v_fma_f32 v152, -0.5, v12, v152
	v_mov_b32_e32 v248, v152
	v_fmac_f32_e32 v248, 0xbf737871, v6
	v_fmac_f32_e32 v152, 0x3f737871, v6
	;; [unrolled: 1-line block ×4, first 2 shown]
	v_add_f32_e32 v5, v153, v0
	v_add_f32_e32 v5, v5, v3
	;; [unrolled: 1-line block ×5, first 2 shown]
	v_fma_f32 v157, -0.5, v5, v153
	v_sub_f32_e32 v12, v249, v247
	v_sub_f32_e32 v5, v247, v7
	v_mov_b32_e32 v247, v157
	v_sub_f32_e32 v13, v4, v7
	v_fmac_f32_e32 v247, 0xbf737871, v5
	v_sub_f32_e32 v4, v249, v4
	v_sub_f32_e32 v6, v0, v3
	v_sub_f32_e32 v7, v226, v227
	v_fmac_f32_e32 v157, 0x3f737871, v5
	v_fmac_f32_e32 v247, 0xbf167918, v4
	v_add_f32_e32 v6, v6, v7
	v_fmac_f32_e32 v157, 0x3f167918, v4
	v_fmac_f32_e32 v247, 0x3e9e377a, v6
	;; [unrolled: 1-line block ×3, first 2 shown]
	v_add_f32_e32 v6, v0, v226
	v_add_f32_e32 v2, v2, v17
	v_fmac_f32_e32 v153, -0.5, v6
	v_add_u32_e32 v17, 0x2800, v254
	v_mov_b32_e32 v249, v153
	ds_write_b64 v254, v[220:221] offset:5000
	ds_write_b64 v254, v[224:225] offset:10000
	;; [unrolled: 1-line block ×4, first 2 shown]
	ds_write2_b64 v254, v[8:9], v[10:11] offset1:125
	ds_write2_b64 v165, v[240:241], v[250:251] offset0:110 offset1:235
	ds_write2_b64 v17, v[242:243], v[252:253] offset0:95 offset1:220
	;; [unrolled: 1-line block ×3, first 2 shown]
	v_add_co_u32_e32 v162, vcc, s2, v164
	v_add_f32_e32 v1, v1, v15
	v_fmac_f32_e32 v249, 0x3f737871, v4
	v_sub_f32_e32 v0, v3, v0
	v_sub_f32_e32 v3, v227, v226
	v_fmac_f32_e32 v153, 0xbf737871, v4
	v_addc_co_u32_e32 v163, vcc, 0, v167, vcc
	s_movk_i32 s2, 0x6000
	v_add_f32_e32 v1, v1, v16
	v_add_f32_e32 v12, v12, v13
	v_fmac_f32_e32 v249, 0xbf167918, v5
	v_add_f32_e32 v0, v0, v3
	v_fmac_f32_e32 v153, 0x3f167918, v5
	v_add_co_u32_e32 v4, vcc, s2, v164
	v_add_f32_e32 v1, v1, v18
	v_fmac_f32_e32 v248, 0x3e9e377a, v12
	v_fmac_f32_e32 v152, 0x3e9e377a, v12
	;; [unrolled: 1-line block ×4, first 2 shown]
	v_add_u32_e32 v18, 0x5000, v254
	v_add_u32_e32 v226, 0x3000, v254
	;; [unrolled: 1-line block ×4, first 2 shown]
	v_addc_co_u32_e32 v5, vcc, 0, v167, vcc
	v_add_f32_e32 v2, v2, v19
	ds_write2_b64 v18, v[160:161], v[228:229] offset0:65 offset1:190
	ds_write2_b64 v166, v[1:2], v[232:233] offset0:122 offset1:247
	ds_write_b64 v254, v[244:245] offset:4000
	ds_write2_b64 v207, v[234:235], v[246:247] offset0:104 offset1:229
	ds_write2_b64 v226, v[236:237], v[248:249] offset0:89 offset1:214
	;; [unrolled: 1-line block ×4, first 2 shown]
	s_waitcnt lgkmcnt(0)
	s_barrier
	global_load_dwordx2 v[4:5], v[4:5], off offset:424
	ds_read2_b64 v[0:3], v254 offset1:125
	s_movk_i32 s2, 0x7000
	v_add_co_u32_e32 v8, vcc, s2, v164
	v_addc_co_u32_e32 v9, vcc, 0, v167, vcc
	s_mov_b32 s2, 0x8000
	v_add_co_u32_e32 v220, vcc, s2, v164
	v_addc_co_u32_e32 v221, vcc, 0, v167, vcc
	v_add_u32_e32 v230, 0x2400, v254
	s_mov_b32 s2, 0x9000
	v_add_co_u32_e32 v160, vcc, s2, v164
	v_addc_co_u32_e32 v161, vcc, 0, v167, vcc
	v_add_u32_e32 v229, 0x3400, v254
	s_mov_b32 s2, 0xa000
	v_add_u32_e32 v228, 0x4c00, v254
	v_add_u32_e32 v19, 0x2c00, v254
	s_waitcnt vmcnt(0) lgkmcnt(0)
	v_mul_f32_e32 v6, v1, v5
	v_mul_f32_e32 v7, v0, v5
	v_fma_f32 v6, v0, v4, -v6
	v_fmac_f32_e32 v7, v1, v4
	global_load_dwordx2 v[0:1], v[8:9], off offset:1328
	ds_write_b64 v254, v[6:7]
	ds_read2_b64 v[156:159], v255 offset0:116 offset1:241
	ds_read2_b64 v[152:155], v229 offset0:86 offset1:211
	;; [unrolled: 1-line block ×3, first 2 shown]
	s_waitcnt vmcnt(0) lgkmcnt(2)
	v_mul_f32_e32 v4, v159, v1
	v_mul_f32_e32 v11, v158, v1
	v_fma_f32 v10, v158, v0, -v4
	v_fmac_f32_e32 v11, v159, v0
	global_load_dwordx2 v[0:1], v[220:221], off offset:2232
	ds_read2_b64 v[4:7], v230 offset0:98 offset1:223
	v_add_co_u32_e32 v158, vcc, s2, v164
	v_addc_co_u32_e32 v159, vcc, 0, v167, vcc
	s_mov_b32 s2, 0xb000
	s_waitcnt vmcnt(0) lgkmcnt(0)
	v_mul_f32_e32 v12, v5, v1
	v_mul_f32_e32 v217, v4, v1
	v_fma_f32 v216, v4, v0, -v12
	v_fmac_f32_e32 v217, v5, v0
	global_load_dwordx2 v[0:1], v[160:161], off offset:3136
	s_waitcnt vmcnt(0)
	v_mul_f32_e32 v4, v155, v1
	v_mul_f32_e32 v13, v154, v1
	v_fma_f32 v12, v154, v0, -v4
	v_fmac_f32_e32 v13, v155, v0
	global_load_dwordx2 v[0:1], v[158:159], off offset:4040
	s_waitcnt vmcnt(0)
	;; [unrolled: 6-line block ×3, first 2 shown]
	v_mul_f32_e32 v4, v3, v1
	v_fma_f32 v14, v2, v0, -v4
	global_load_dwordx2 v[4:5], v[8:9], off offset:2328
	v_mul_f32_e32 v15, v2, v1
	v_fmac_f32_e32 v15, v3, v0
	ds_read2_b64 v[0:3], v165 offset0:110 offset1:235
	s_waitcnt vmcnt(0) lgkmcnt(0)
	v_mul_f32_e32 v16, v1, v5
	v_mul_f32_e32 v219, v0, v5
	v_fma_f32 v218, v0, v4, -v16
	v_fmac_f32_e32 v219, v1, v4
	v_add_u32_e32 v0, 0x1000, v254
	ds_write2_b64 v0, v[10:11], v[218:219] offset0:113 offset1:238
	global_load_dwordx2 v[0:1], v[220:221], off offset:3232
	s_waitcnt vmcnt(0)
	v_mul_f32_e32 v4, v7, v1
	v_mul_f32_e32 v11, v6, v1
	v_fma_f32 v10, v6, v0, -v4
	v_fmac_f32_e32 v11, v7, v0
	global_load_dwordx2 v[0:1], v[158:159], off offset:40
	ds_read2_b64 v[4:7], v206 offset0:80 offset1:205
	s_waitcnt vmcnt(0) lgkmcnt(0)
	v_mul_f32_e32 v16, v5, v1
	v_mul_f32_e32 v219, v4, v1
	v_fma_f32 v218, v4, v0, -v16
	v_fmac_f32_e32 v219, v5, v0
	v_add_u32_e32 v0, 0x3800, v254
	ds_write2_b64 v0, v[12:13], v[218:219] offset0:83 offset1:208
	v_add_co_u32_e32 v218, vcc, s2, v164
	v_addc_co_u32_e32 v219, vcc, 0, v167, vcc
	global_load_dwordx2 v[0:1], v[218:219], off offset:944
	s_mov_b32 s2, 0x88e368f1
	s_mov_b32 s3, 0x3f34f8b5
	s_waitcnt vmcnt(0)
	v_mul_f32_e32 v4, v225, v1
	v_mul_f32_e32 v13, v224, v1
	v_fma_f32 v12, v224, v0, -v4
	v_fmac_f32_e32 v13, v225, v0
	global_load_dwordx2 v[0:1], v[162:163], off offset:2000
	ds_read2_b64 v[222:225], v166 offset0:122 offset1:247
	s_waitcnt vmcnt(0) lgkmcnt(0)
	v_mul_f32_e32 v4, v223, v1
	v_mul_f32_e32 v5, v222, v1
	v_fma_f32 v4, v222, v0, -v4
	v_fmac_f32_e32 v5, v223, v0
	global_load_dwordx2 v[0:1], v[8:9], off offset:3328
	ds_write2_b64 v254, v[14:15], v[4:5] offset0:125 offset1:250
	s_waitcnt vmcnt(0)
	v_mul_f32_e32 v4, v3, v1
	v_fma_f32 v8, v2, v0, -v4
	global_load_dwordx2 v[4:5], v[160:161], off offset:136
	v_mul_f32_e32 v9, v2, v1
	v_fmac_f32_e32 v9, v3, v0
	ds_read2_b64 v[0:3], v19 offset0:92 offset1:217
	s_waitcnt vmcnt(0) lgkmcnt(0)
	v_mul_f32_e32 v14, v1, v5
	v_mul_f32_e32 v15, v0, v5
	v_fma_f32 v14, v0, v4, -v14
	v_fmac_f32_e32 v15, v1, v4
	global_load_dwordx2 v[0:1], v[158:159], off offset:1040
	ds_write2_b64 v17, v[10:11], v[14:15] offset0:95 offset1:220
	v_add_u32_e32 v17, 0x5400, v254
	s_waitcnt vmcnt(0)
	v_mul_f32_e32 v4, v7, v1
	v_mul_f32_e32 v11, v6, v1
	v_fma_f32 v10, v6, v0, -v4
	v_fmac_f32_e32 v11, v7, v0
	global_load_dwordx2 v[0:1], v[218:219], off offset:1944
	ds_read2_b64 v[4:7], v17 offset0:62 offset1:187
	s_waitcnt vmcnt(0) lgkmcnt(0)
	v_mul_f32_e32 v14, v5, v1
	v_mul_f32_e32 v15, v4, v1
	v_fma_f32 v14, v4, v0, -v14
	v_fmac_f32_e32 v15, v5, v0
	global_load_dwordx2 v[0:1], v[162:163], off offset:3000
	ds_write2_b64 v18, v[12:13], v[14:15] offset0:65 offset1:190
	s_waitcnt vmcnt(0)
	v_mul_f32_e32 v4, v225, v1
	v_mul_f32_e32 v5, v224, v1
	v_fma_f32 v4, v224, v0, -v4
	v_fmac_f32_e32 v5, v225, v0
	global_load_dwordx2 v[0:1], v[220:221], off offset:232
	ds_read2_b64 v[222:225], v207 offset0:104 offset1:229
	s_waitcnt vmcnt(0) lgkmcnt(0)
	v_mul_f32_e32 v12, v223, v1
	v_mul_f32_e32 v13, v222, v1
	v_fma_f32 v12, v222, v0, -v12
	v_fmac_f32_e32 v13, v223, v0
	v_add_u32_e32 v0, 0x1800, v254
	ds_write2_b64 v0, v[8:9], v[12:13] offset0:107 offset1:232
	global_load_dwordx2 v[0:1], v[160:161], off offset:1136
	global_load_dwordx2 v[12:13], v[158:159], off offset:2040
	s_waitcnt vmcnt(1)
	v_mul_f32_e32 v8, v3, v1
	v_mul_f32_e32 v9, v2, v1
	v_fma_f32 v8, v2, v0, -v8
	v_fmac_f32_e32 v9, v3, v0
	ds_read2_b64 v[0:3], v231 offset0:74 offset1:199
	s_waitcnt vmcnt(0) lgkmcnt(0)
	v_mul_f32_e32 v14, v1, v13
	v_mul_f32_e32 v15, v0, v13
	v_fma_f32 v14, v0, v12, -v14
	v_fmac_f32_e32 v15, v1, v12
	v_add_u32_e32 v0, 0x4000, v254
	ds_write2_b64 v0, v[10:11], v[14:15] offset0:77 offset1:202
	global_load_dwordx2 v[0:1], v[218:219], off offset:2944
	s_waitcnt vmcnt(0)
	v_mul_f32_e32 v10, v7, v1
	v_mul_f32_e32 v11, v6, v1
	v_fma_f32 v10, v6, v0, -v10
	v_fmac_f32_e32 v11, v7, v0
	global_load_dwordx2 v[0:1], v[162:163], off offset:4000
	s_waitcnt vmcnt(0)
	v_mul_f32_e32 v6, v157, v1
	v_mul_f32_e32 v7, v156, v1
	v_fma_f32 v6, v156, v0, -v6
	v_fmac_f32_e32 v7, v157, v0
	v_add_u32_e32 v0, 0x800, v254
	ds_write2_b64 v0, v[4:5], v[6:7] offset0:119 offset1:244
	global_load_dwordx2 v[0:1], v[220:221], off offset:1232
	s_waitcnt vmcnt(0)
	v_mul_f32_e32 v4, v225, v1
	v_mul_f32_e32 v5, v224, v1
	v_fma_f32 v4, v224, v0, -v4
	v_fmac_f32_e32 v5, v225, v0
	v_add_u32_e32 v0, 0x2000, v254
	ds_write2_b64 v0, v[4:5], v[216:217] offset0:101 offset1:226
	global_load_dwordx2 v[0:1], v[160:161], off offset:2136
	s_waitcnt vmcnt(0)
	v_mul_f32_e32 v4, v153, v1
	v_mul_f32_e32 v5, v152, v1
	v_fma_f32 v4, v152, v0, -v4
	v_fmac_f32_e32 v5, v153, v0
	global_load_dwordx2 v[0:1], v[158:159], off offset:3040
	ds_write2_b64 v226, v[8:9], v[4:5] offset0:89 offset1:214
	s_waitcnt vmcnt(0)
	v_mul_f32_e32 v4, v3, v1
	v_mul_f32_e32 v5, v2, v1
	v_fma_f32 v4, v2, v0, -v4
	v_fmac_f32_e32 v5, v3, v0
	global_load_dwordx2 v[2:3], v[218:219], off offset:3944
	v_add_u32_e32 v0, 0x4800, v254
	ds_write2_b64 v0, v[4:5], v[154:155] offset0:71 offset1:196
	ds_read_b64 v[0:1], v254 offset:24000
	s_waitcnt vmcnt(0) lgkmcnt(0)
	v_mul_f32_e32 v4, v1, v3
	v_mul_f32_e32 v5, v0, v3
	v_fma_f32 v4, v0, v2, -v4
	v_fmac_f32_e32 v5, v1, v2
	ds_write2_b64 v227, v[10:11], v[4:5] offset0:59 offset1:184
	s_waitcnt lgkmcnt(0)
	s_barrier
	ds_read2_b64 v[160:163], v254 offset1:125
	ds_read2_b64 v[152:155], v255 offset0:116 offset1:241
	ds_read2_b64 v[0:3], v230 offset0:98 offset1:223
	;; [unrolled: 1-line block ×9, first 2 shown]
	s_waitcnt lgkmcnt(8)
	v_add_f32_e32 v18, v160, v154
	s_waitcnt lgkmcnt(7)
	v_add_f32_e32 v18, v18, v0
	;; [unrolled: 2-line block ×4, first 2 shown]
	v_add_f32_e32 v18, v0, v14
	v_fma_f32 v220, -0.5, v18, v160
	v_sub_f32_e32 v18, v155, v217
	v_mov_b32_e32 v236, v220
	v_fmac_f32_e32 v236, 0xbf737871, v18
	v_sub_f32_e32 v19, v1, v15
	v_sub_f32_e32 v164, v154, v0
	;; [unrolled: 1-line block ×3, first 2 shown]
	v_fmac_f32_e32 v220, 0x3f737871, v18
	v_fmac_f32_e32 v236, 0xbf167918, v19
	v_add_f32_e32 v164, v164, v167
	v_fmac_f32_e32 v220, 0x3f167918, v19
	v_fmac_f32_e32 v236, 0x3e9e377a, v164
	;; [unrolled: 1-line block ×3, first 2 shown]
	v_add_f32_e32 v164, v154, v216
	v_fma_f32 v244, -0.5, v164, v160
	v_mov_b32_e32 v246, v244
	v_fmac_f32_e32 v246, 0x3f737871, v19
	v_fmac_f32_e32 v244, 0xbf737871, v19
	;; [unrolled: 1-line block ×4, first 2 shown]
	v_add_f32_e32 v18, v161, v155
	v_add_f32_e32 v18, v18, v1
	;; [unrolled: 1-line block ×5, first 2 shown]
	v_fma_f32 v221, -0.5, v18, v161
	v_sub_f32_e32 v18, v154, v216
	v_mov_b32_e32 v237, v221
	v_sub_f32_e32 v160, v0, v154
	v_sub_f32_e32 v164, v14, v216
	v_fmac_f32_e32 v237, 0x3f737871, v18
	v_sub_f32_e32 v0, v0, v14
	v_sub_f32_e32 v14, v155, v1
	v_sub_f32_e32 v19, v217, v15
	v_fmac_f32_e32 v221, 0xbf737871, v18
	v_fmac_f32_e32 v237, 0x3f167918, v0
	v_add_f32_e32 v14, v14, v19
	v_fmac_f32_e32 v221, 0xbf167918, v0
	v_fmac_f32_e32 v237, 0x3e9e377a, v14
	;; [unrolled: 1-line block ×3, first 2 shown]
	v_add_f32_e32 v14, v155, v217
	v_fma_f32 v245, -0.5, v14, v161
	v_mov_b32_e32 v247, v245
	v_fmac_f32_e32 v247, 0xbf737871, v0
	v_fmac_f32_e32 v245, 0x3f737871, v0
	s_waitcnt lgkmcnt(4)
	v_add_f32_e32 v0, v162, v227
	v_add_f32_e32 v0, v0, v2
	s_waitcnt lgkmcnt(3)
	v_add_f32_e32 v0, v0, v238
	v_add_f32_e32 v216, v0, v218
	;; [unrolled: 1-line block ×3, first 2 shown]
	v_sub_f32_e32 v1, v1, v155
	v_sub_f32_e32 v14, v15, v217
	v_fma_f32 v242, -0.5, v0, v162
	v_fmac_f32_e32 v247, 0x3f167918, v18
	v_add_f32_e32 v1, v1, v14
	v_fmac_f32_e32 v245, 0xbf167918, v18
	v_sub_f32_e32 v0, v228, v219
	v_mov_b32_e32 v252, v242
	v_fmac_f32_e32 v247, 0x3e9e377a, v1
	v_fmac_f32_e32 v245, 0x3e9e377a, v1
	;; [unrolled: 1-line block ×3, first 2 shown]
	v_sub_f32_e32 v1, v3, v239
	v_sub_f32_e32 v14, v227, v2
	;; [unrolled: 1-line block ×3, first 2 shown]
	v_fmac_f32_e32 v242, 0x3f737871, v0
	v_fmac_f32_e32 v252, 0xbf167918, v1
	v_add_f32_e32 v14, v14, v15
	v_fmac_f32_e32 v242, 0x3f167918, v1
	v_fmac_f32_e32 v252, 0x3e9e377a, v14
	;; [unrolled: 1-line block ×3, first 2 shown]
	v_add_f32_e32 v14, v227, v218
	v_fma_f32 v162, -0.5, v14, v162
	v_mov_b32_e32 v154, v162
	v_fmac_f32_e32 v154, 0x3f737871, v1
	v_fmac_f32_e32 v162, 0xbf737871, v1
	;; [unrolled: 1-line block ×4, first 2 shown]
	v_add_f32_e32 v0, v163, v228
	v_add_f32_e32 v0, v0, v3
	;; [unrolled: 1-line block ×5, first 2 shown]
	v_sub_f32_e32 v14, v2, v227
	v_sub_f32_e32 v15, v238, v218
	v_fma_f32 v243, -0.5, v0, v163
	v_add_f32_e32 v14, v14, v15
	v_sub_f32_e32 v0, v227, v218
	v_mov_b32_e32 v253, v243
	v_fmac_f32_e32 v154, 0x3e9e377a, v14
	v_fmac_f32_e32 v162, 0x3e9e377a, v14
	;; [unrolled: 1-line block ×3, first 2 shown]
	v_sub_f32_e32 v1, v2, v238
	v_sub_f32_e32 v2, v228, v3
	;; [unrolled: 1-line block ×3, first 2 shown]
	v_fmac_f32_e32 v243, 0xbf737871, v0
	v_fmac_f32_e32 v253, 0x3f167918, v1
	v_add_f32_e32 v2, v2, v14
	v_fmac_f32_e32 v243, 0xbf167918, v1
	v_fmac_f32_e32 v253, 0x3e9e377a, v2
	;; [unrolled: 1-line block ×3, first 2 shown]
	v_add_f32_e32 v2, v228, v219
	v_fmac_f32_e32 v163, -0.5, v2
	v_mov_b32_e32 v155, v163
	v_fmac_f32_e32 v155, 0xbf737871, v1
	v_fmac_f32_e32 v163, 0x3f737871, v1
	;; [unrolled: 1-line block ×4, first 2 shown]
	s_waitcnt lgkmcnt(2)
	v_add_f32_e32 v0, v156, v229
	v_sub_f32_e32 v2, v3, v228
	v_sub_f32_e32 v3, v239, v219
	s_waitcnt lgkmcnt(1)
	v_add_f32_e32 v0, v0, v222
	v_add_f32_e32 v2, v2, v3
	;; [unrolled: 1-line block ×3, first 2 shown]
	v_fmac_f32_e32 v155, 0x3e9e377a, v2
	v_fmac_f32_e32 v163, 0x3e9e377a, v2
	s_waitcnt lgkmcnt(0)
	v_add_f32_e32 v2, v0, v4
	v_add_f32_e32 v0, v222, v240
	v_fma_f32 v238, -0.5, v0, v156
	v_sub_f32_e32 v1, v230, v5
	v_mov_b32_e32 v0, v238
	v_fmac_f32_e32 v0, 0xbf737871, v1
	v_sub_f32_e32 v3, v223, v241
	v_sub_f32_e32 v14, v229, v222
	;; [unrolled: 1-line block ×3, first 2 shown]
	v_fmac_f32_e32 v238, 0x3f737871, v1
	v_fmac_f32_e32 v0, 0xbf167918, v3
	v_add_f32_e32 v14, v14, v15
	v_fmac_f32_e32 v238, 0x3f167918, v3
	v_fmac_f32_e32 v0, 0x3e9e377a, v14
	;; [unrolled: 1-line block ×3, first 2 shown]
	v_add_f32_e32 v14, v229, v4
	v_fma_f32 v226, -0.5, v14, v156
	v_mov_b32_e32 v228, v226
	v_fmac_f32_e32 v228, 0x3f737871, v3
	v_fmac_f32_e32 v226, 0xbf737871, v3
	;; [unrolled: 1-line block ×4, first 2 shown]
	v_add_f32_e32 v1, v157, v230
	v_add_f32_e32 v1, v1, v223
	;; [unrolled: 1-line block ×5, first 2 shown]
	v_sub_f32_e32 v14, v222, v229
	v_sub_f32_e32 v15, v240, v4
	v_fma_f32 v239, -0.5, v1, v157
	v_add_f32_e32 v14, v14, v15
	v_sub_f32_e32 v4, v229, v4
	v_mov_b32_e32 v1, v239
	v_fmac_f32_e32 v228, 0x3e9e377a, v14
	v_fmac_f32_e32 v226, 0x3e9e377a, v14
	;; [unrolled: 1-line block ×3, first 2 shown]
	v_sub_f32_e32 v14, v222, v240
	v_sub_f32_e32 v15, v230, v223
	;; [unrolled: 1-line block ×3, first 2 shown]
	v_fmac_f32_e32 v239, 0xbf737871, v4
	v_fmac_f32_e32 v1, 0x3f167918, v14
	v_add_f32_e32 v15, v15, v18
	v_fmac_f32_e32 v239, 0xbf167918, v14
	ds_read2_b64 v[248:251], v207 offset0:104 offset1:229
	ds_read2_b64 v[8:11], v231 offset0:74 offset1:199
	v_fmac_f32_e32 v1, 0x3e9e377a, v15
	v_fmac_f32_e32 v239, 0x3e9e377a, v15
	v_add_f32_e32 v15, v230, v5
	v_fma_f32 v227, -0.5, v15, v157
	v_mov_b32_e32 v229, v227
	v_fmac_f32_e32 v229, 0xbf737871, v14
	v_fmac_f32_e32 v227, 0x3f737871, v14
	;; [unrolled: 1-line block ×4, first 2 shown]
	s_waitcnt lgkmcnt(1)
	v_add_f32_e32 v4, v158, v248
	v_add_f32_e32 v4, v4, v224
	s_waitcnt lgkmcnt(0)
	v_add_f32_e32 v4, v4, v8
	v_add_f32_e32 v160, v160, v164
	v_sub_f32_e32 v15, v223, v230
	v_add_f32_e32 v230, v4, v6
	v_add_f32_e32 v4, v224, v8
	v_fmac_f32_e32 v246, 0x3e9e377a, v160
	v_fmac_f32_e32 v244, 0x3e9e377a, v160
	v_sub_f32_e32 v5, v241, v5
	v_fma_f32 v160, -0.5, v4, v158
	v_add_f32_e32 v5, v15, v5
	v_sub_f32_e32 v4, v249, v7
	v_mov_b32_e32 v234, v160
	v_fmac_f32_e32 v229, 0x3e9e377a, v5
	v_fmac_f32_e32 v227, 0x3e9e377a, v5
	;; [unrolled: 1-line block ×3, first 2 shown]
	v_sub_f32_e32 v5, v225, v9
	v_sub_f32_e32 v14, v248, v224
	;; [unrolled: 1-line block ×3, first 2 shown]
	v_fmac_f32_e32 v160, 0x3f737871, v4
	v_fmac_f32_e32 v234, 0xbf167918, v5
	v_add_f32_e32 v14, v14, v15
	v_fmac_f32_e32 v160, 0x3f167918, v5
	v_fmac_f32_e32 v234, 0x3e9e377a, v14
	;; [unrolled: 1-line block ×3, first 2 shown]
	v_add_f32_e32 v14, v248, v6
	v_fma_f32 v158, -0.5, v14, v158
	v_mov_b32_e32 v222, v158
	v_fmac_f32_e32 v222, 0x3f737871, v5
	v_fmac_f32_e32 v158, 0xbf737871, v5
	v_fmac_f32_e32 v222, 0xbf167918, v4
	v_fmac_f32_e32 v158, 0x3f167918, v4
	v_add_f32_e32 v4, v159, v249
	v_add_f32_e32 v4, v4, v225
	v_add_f32_e32 v4, v4, v9
	v_mov_b32_e32 v206, v231
	v_add_f32_e32 v231, v4, v7
	v_add_f32_e32 v4, v225, v9
	v_fma_f32 v161, -0.5, v4, v159
	v_sub_f32_e32 v4, v248, v6
	v_mov_b32_e32 v235, v161
	v_sub_f32_e32 v15, v8, v6
	v_fmac_f32_e32 v235, 0x3f737871, v4
	v_sub_f32_e32 v5, v224, v8
	v_sub_f32_e32 v6, v249, v225
	;; [unrolled: 1-line block ×3, first 2 shown]
	v_fmac_f32_e32 v161, 0xbf737871, v4
	v_fmac_f32_e32 v235, 0x3f167918, v5
	v_add_f32_e32 v6, v6, v8
	v_fmac_f32_e32 v161, 0xbf167918, v5
	v_fmac_f32_e32 v235, 0x3e9e377a, v6
	;; [unrolled: 1-line block ×3, first 2 shown]
	v_add_f32_e32 v6, v249, v7
	v_mov_b32_e32 v255, v17
	ds_read_b64 v[16:17], v254 offset:24000
	v_fmac_f32_e32 v159, -0.5, v6
	v_mov_b32_e32 v223, v159
	v_fmac_f32_e32 v223, 0xbf737871, v5
	v_sub_f32_e32 v6, v225, v249
	v_sub_f32_e32 v7, v9, v7
	v_fmac_f32_e32 v159, 0x3f737871, v5
	v_fmac_f32_e32 v223, 0x3f167918, v4
	v_add_f32_e32 v6, v6, v7
	v_fmac_f32_e32 v159, 0xbf167918, v4
	v_add_f32_e32 v5, v12, v10
	v_fmac_f32_e32 v223, 0x3e9e377a, v6
	v_fmac_f32_e32 v159, 0x3e9e377a, v6
	v_fma_f32 v6, -0.5, v5, v152
	s_waitcnt lgkmcnt(0)
	v_sub_f32_e32 v5, v251, v17
	v_mov_b32_e32 v218, v6
	v_fmac_f32_e32 v218, 0xbf737871, v5
	v_sub_f32_e32 v7, v13, v11
	v_sub_f32_e32 v8, v250, v12
	;; [unrolled: 1-line block ×3, first 2 shown]
	v_fmac_f32_e32 v6, 0x3f737871, v5
	v_fmac_f32_e32 v218, 0xbf167918, v7
	v_add_f32_e32 v8, v8, v9
	v_fmac_f32_e32 v6, 0x3f167918, v7
	v_fmac_f32_e32 v218, 0x3e9e377a, v8
	;; [unrolled: 1-line block ×3, first 2 shown]
	v_add_f32_e32 v8, v250, v16
	v_add_f32_e32 v4, v152, v250
	v_fma_f32 v152, -0.5, v8, v152
	v_mov_b32_e32 v156, v152
	v_fmac_f32_e32 v156, 0x3f737871, v7
	v_sub_f32_e32 v8, v12, v250
	v_sub_f32_e32 v9, v10, v16
	v_fmac_f32_e32 v152, 0xbf737871, v7
	v_add_f32_e32 v7, v13, v11
	v_fmac_f32_e32 v156, 0xbf167918, v5
	v_add_f32_e32 v8, v8, v9
	v_fmac_f32_e32 v152, 0x3f167918, v5
	v_fma_f32 v7, -0.5, v7, v153
	v_add_f32_e32 v4, v4, v12
	v_fmac_f32_e32 v156, 0x3e9e377a, v8
	v_fmac_f32_e32 v152, 0x3e9e377a, v8
	v_sub_f32_e32 v8, v250, v16
	v_mov_b32_e32 v219, v7
	v_add_f32_e32 v4, v4, v10
	v_fmac_f32_e32 v219, 0x3f737871, v8
	v_sub_f32_e32 v9, v12, v10
	v_sub_f32_e32 v10, v251, v13
	;; [unrolled: 1-line block ×3, first 2 shown]
	v_fmac_f32_e32 v7, 0xbf737871, v8
	v_fmac_f32_e32 v219, 0x3f167918, v9
	v_add_f32_e32 v10, v10, v12
	v_fmac_f32_e32 v7, 0xbf167918, v9
	v_fmac_f32_e32 v219, 0x3e9e377a, v10
	;; [unrolled: 1-line block ×3, first 2 shown]
	v_add_f32_e32 v10, v251, v17
	v_add_f32_e32 v5, v153, v251
	v_fmac_f32_e32 v153, -0.5, v10
	v_mov_b32_e32 v157, v153
	v_fmac_f32_e32 v157, 0xbf737871, v9
	v_fmac_f32_e32 v153, 0x3f737871, v9
	;; [unrolled: 1-line block ×4, first 2 shown]
	s_barrier
	buffer_load_dword v8, off, s[24:27], 0 offset:164 ; 4-byte Folded Reload
	s_waitcnt vmcnt(0)
	ds_write2_b64 v8, v[232:233], v[236:237] offset1:1
	ds_write2_b64 v8, v[246:247], v[244:245] offset0:2 offset1:3
	ds_write_b64 v8, v[220:221] offset:32
	buffer_load_dword v8, off, s[24:27], 0 offset:160 ; 4-byte Folded Reload
	s_waitcnt vmcnt(0)
	ds_write2_b64 v8, v[216:217], v[252:253] offset1:1
	ds_write2_b64 v8, v[154:155], v[162:163] offset0:2 offset1:3
	ds_write_b64 v8, v[242:243] offset:32
	buffer_load_dword v8, off, s[24:27], 0 offset:156 ; 4-byte Folded Reload
	s_waitcnt vmcnt(0)
	ds_write2_b64 v8, v[2:3], v[0:1] offset1:1
	ds_write2_b64 v8, v[228:229], v[226:227] offset0:2 offset1:3
	ds_write_b64 v8, v[238:239] offset:32
	buffer_load_dword v0, off, s[24:27], 0 offset:152 ; 4-byte Folded Reload
	v_sub_f32_e32 v14, v224, v248
	v_add_f32_e32 v14, v14, v15
	v_fmac_f32_e32 v222, 0x3e9e377a, v14
	v_fmac_f32_e32 v158, 0x3e9e377a, v14
	s_waitcnt vmcnt(0)
	ds_write2_b64 v0, v[230:231], v[234:235] offset1:1
	ds_write2_b64 v0, v[222:223], v[158:159] offset0:2 offset1:3
	ds_write_b64 v0, v[160:161] offset:32
	buffer_load_dword v0, off, s[24:27], 0 offset:148 ; 4-byte Folded Reload
	v_add_f32_e32 v5, v5, v13
	v_add_f32_e32 v5, v5, v11
	v_sub_f32_e32 v10, v13, v251
	v_sub_f32_e32 v11, v11, v17
	v_add_f32_e32 v4, v4, v16
	v_add_f32_e32 v5, v5, v17
	;; [unrolled: 1-line block ×3, first 2 shown]
	v_add_u32_e32 v246, 0x2400, v254
	v_fmac_f32_e32 v157, 0x3e9e377a, v10
	v_fmac_f32_e32 v153, 0x3e9e377a, v10
	s_waitcnt vmcnt(0)
	ds_write2_b64 v0, v[4:5], v[218:219] offset1:1
	ds_write2_b64 v0, v[156:157], v[152:153] offset0:2 offset1:3
	ds_write_b64 v0, v[6:7] offset:32
	s_waitcnt lgkmcnt(0)
	s_barrier
	ds_read2_b64 v[0:3], v246 offset0:98 offset1:223
	v_add_u32_e32 v245, 0x3400, v254
	v_add_u32_e32 v247, 0xc00, v254
	ds_read2_b64 v[8:11], v245 offset0:86 offset1:211
	v_add_u32_e32 v244, 0x4c00, v254
	ds_read2_b64 v[160:163], v254 offset1:125
	ds_read2_b64 v[152:155], v247 offset0:116 offset1:241
	ds_read2_b64 v[12:15], v244 offset0:68 offset1:193
	;; [unrolled: 1-line block ×3, first 2 shown]
	s_waitcnt lgkmcnt(5)
	v_mul_f32_e32 v19, v83, v1
	v_add_u32_e32 v243, 0x3c00, v254
	v_fmac_f32_e32 v19, v82, v0
	v_mul_f32_e32 v0, v83, v0
	ds_read2_b64 v[220:223], v243 offset0:80 offset1:205
	ds_read2_b64 v[156:159], v166 offset0:122 offset1:247
	v_fma_f32 v5, v82, v1, -v0
	s_waitcnt lgkmcnt(6)
	v_mul_f32_e32 v82, v77, v11
	v_mul_f32_e32 v0, v77, v10
	v_fmac_f32_e32 v82, v76, v10
	v_fma_f32 v6, v76, v11, -v0
	s_waitcnt lgkmcnt(3)
	v_mul_f32_e32 v10, v79, v13
	v_mul_f32_e32 v0, v79, v12
	s_waitcnt lgkmcnt(2)
	v_mul_f32_e32 v1, v89, v216
	v_add_u32_e32 v242, 0x2c00, v254
	v_fmac_f32_e32 v10, v78, v12
	v_fma_f32 v7, v78, v13, -v0
	v_fma_f32 v78, v88, v217, -v1
	v_mul_f32_e32 v1, v91, v3
	v_mul_f32_e32 v11, v87, v14
	ds_read2_b64 v[224:227], v242 offset0:92 offset1:217
	ds_read2_b64 v[228:231], v255 offset0:62 offset1:187
	;; [unrolled: 1-line block ×4, first 2 shown]
	ds_read_b64 v[16:17], v254 offset:24000
	v_mul_f32_e32 v18, v81, v155
	v_mul_f32_e32 v4, v81, v154
	v_fmac_f32_e32 v1, v90, v2
	v_mul_f32_e32 v2, v91, v2
	v_fma_f32 v81, v86, v15, -v11
	v_mul_f32_e32 v83, v97, v219
	v_mul_f32_e32 v11, v97, v218
	v_fma_f32 v79, v90, v3, -v2
	s_waitcnt lgkmcnt(6)
	v_mul_f32_e32 v2, v85, v221
	v_mul_f32_e32 v3, v85, v220
	v_fmac_f32_e32 v83, v96, v218
	v_fma_f32 v96, v96, v219, -v11
	s_waitcnt lgkmcnt(4)
	v_mul_f32_e32 v85, v99, v225
	v_mul_f32_e32 v11, v99, v224
	v_fmac_f32_e32 v18, v80, v154
	v_fma_f32 v4, v80, v155, -v4
	v_fma_f32 v80, v84, v221, -v3
	v_mul_f32_e32 v3, v87, v15
	v_fmac_f32_e32 v85, v98, v224
	v_fma_f32 v98, v98, v225, -v11
	v_mul_f32_e32 v87, v93, v223
	v_mul_f32_e32 v11, v93, v222
	v_fmac_f32_e32 v87, v92, v222
	v_fma_f32 v92, v92, v223, -v11
	s_waitcnt lgkmcnt(3)
	v_mul_f32_e32 v11, v95, v228
	v_fma_f32 v93, v94, v229, -v11
	s_waitcnt lgkmcnt(2)
	v_mul_f32_e32 v97, v105, v233
	v_mul_f32_e32 v11, v105, v232
	v_fmac_f32_e32 v97, v104, v232
	v_fma_f32 v104, v104, v233, -v11
	v_mul_f32_e32 v99, v107, v227
	v_mul_f32_e32 v11, v107, v226
	v_fmac_f32_e32 v2, v84, v220
	v_fmac_f32_e32 v99, v106, v226
	v_fma_f32 v106, v106, v227, -v11
	s_waitcnt lgkmcnt(1)
	v_mul_f32_e32 v220, v101, v237
	v_mul_f32_e32 v11, v101, v236
	v_fmac_f32_e32 v220, v100, v236
	v_fma_f32 v100, v100, v237, -v11
	v_mul_f32_e32 v11, v103, v230
	v_fma_f32 v101, v102, v231, -v11
	v_mul_f32_e32 v11, v109, v234
	;; [unrolled: 2-line block ×3, first 2 shown]
	v_add_f32_e32 v11, v160, v18
	v_fmac_f32_e32 v107, v110, v8
	v_mul_f32_e32 v8, v111, v8
	v_add_f32_e32 v11, v11, v19
	v_fma_f32 v167, v110, v9, -v8
	v_mul_f32_e32 v8, v73, v238
	v_add_f32_e32 v11, v11, v82
	v_fma_f32 v218, v72, v239, -v8
	s_waitcnt lgkmcnt(0)
	v_mul_f32_e32 v8, v75, v17
	v_mul_f32_e32 v9, v75, v16
	v_add_f32_e32 v154, v11, v10
	v_add_f32_e32 v11, v19, v82
	v_mul_f32_e32 v0, v89, v217
	v_fmac_f32_e32 v8, v74, v16
	v_fma_f32 v9, v74, v17, -v9
	v_fma_f32 v74, -0.5, v11, v160
	v_fmac_f32_e32 v0, v88, v216
	v_sub_f32_e32 v11, v4, v7
	v_mov_b32_e32 v216, v74
	v_fmac_f32_e32 v3, v86, v14
	v_fmac_f32_e32 v216, 0xbf737871, v11
	v_sub_f32_e32 v12, v5, v6
	v_sub_f32_e32 v13, v18, v19
	;; [unrolled: 1-line block ×3, first 2 shown]
	v_fmac_f32_e32 v74, 0x3f737871, v11
	v_fmac_f32_e32 v216, 0xbf167918, v12
	v_add_f32_e32 v13, v13, v14
	v_fmac_f32_e32 v74, 0x3f167918, v12
	v_mul_f32_e32 v105, v109, v235
	v_fmac_f32_e32 v216, 0x3e9e377a, v13
	v_fmac_f32_e32 v74, 0x3e9e377a, v13
	v_add_f32_e32 v13, v18, v10
	v_fmac_f32_e32 v105, v108, v234
	v_fma_f32 v108, -0.5, v13, v160
	v_mov_b32_e32 v110, v108
	v_fmac_f32_e32 v110, 0x3f737871, v12
	v_fmac_f32_e32 v108, 0xbf737871, v12
	;; [unrolled: 1-line block ×4, first 2 shown]
	v_add_f32_e32 v11, v161, v4
	v_add_f32_e32 v11, v11, v5
	;; [unrolled: 1-line block ×5, first 2 shown]
	v_sub_f32_e32 v13, v19, v18
	v_sub_f32_e32 v14, v82, v10
	v_fma_f32 v75, -0.5, v11, v161
	v_add_f32_e32 v13, v13, v14
	v_sub_f32_e32 v10, v18, v10
	v_mov_b32_e32 v217, v75
	v_fmac_f32_e32 v110, 0x3e9e377a, v13
	v_fmac_f32_e32 v108, 0x3e9e377a, v13
	;; [unrolled: 1-line block ×3, first 2 shown]
	v_sub_f32_e32 v11, v19, v82
	v_sub_f32_e32 v12, v4, v5
	;; [unrolled: 1-line block ×3, first 2 shown]
	v_fmac_f32_e32 v75, 0xbf737871, v10
	v_fmac_f32_e32 v217, 0x3f167918, v11
	v_add_f32_e32 v12, v12, v13
	v_fmac_f32_e32 v75, 0xbf167918, v11
	v_fmac_f32_e32 v217, 0x3e9e377a, v12
	;; [unrolled: 1-line block ×3, first 2 shown]
	v_add_f32_e32 v12, v4, v7
	v_fma_f32 v109, -0.5, v12, v161
	v_mov_b32_e32 v111, v109
	v_fmac_f32_e32 v111, 0xbf737871, v11
	v_sub_f32_e32 v4, v5, v4
	v_sub_f32_e32 v5, v6, v7
	v_fmac_f32_e32 v109, 0x3f737871, v11
	v_fmac_f32_e32 v111, 0x3f167918, v10
	v_add_f32_e32 v4, v4, v5
	v_fmac_f32_e32 v109, 0xbf167918, v10
	v_fmac_f32_e32 v111, 0x3e9e377a, v4
	;; [unrolled: 1-line block ×3, first 2 shown]
	v_add_f32_e32 v4, v162, v0
	v_add_f32_e32 v4, v4, v1
	;; [unrolled: 1-line block ×3, first 2 shown]
	v_mul_f32_e32 v219, v73, v239
	v_add_f32_e32 v88, v4, v3
	v_add_f32_e32 v4, v1, v2
	v_fmac_f32_e32 v219, v72, v238
	v_fma_f32 v72, -0.5, v4, v162
	v_sub_f32_e32 v4, v78, v81
	v_mov_b32_e32 v90, v72
	v_fmac_f32_e32 v90, 0xbf737871, v4
	v_sub_f32_e32 v5, v79, v80
	v_sub_f32_e32 v6, v0, v1
	;; [unrolled: 1-line block ×3, first 2 shown]
	v_fmac_f32_e32 v72, 0x3f737871, v4
	v_fmac_f32_e32 v90, 0xbf167918, v5
	v_add_f32_e32 v6, v6, v7
	v_fmac_f32_e32 v72, 0x3f167918, v5
	v_fmac_f32_e32 v90, 0x3e9e377a, v6
	;; [unrolled: 1-line block ×3, first 2 shown]
	v_add_f32_e32 v6, v0, v3
	v_fma_f32 v162, -0.5, v6, v162
	v_mov_b32_e32 v76, v162
	v_fmac_f32_e32 v76, 0x3f737871, v5
	v_fmac_f32_e32 v162, 0xbf737871, v5
	;; [unrolled: 1-line block ×4, first 2 shown]
	v_add_f32_e32 v4, v163, v78
	v_add_f32_e32 v4, v4, v79
	;; [unrolled: 1-line block ×5, first 2 shown]
	v_fma_f32 v73, -0.5, v4, v163
	v_sub_f32_e32 v6, v1, v0
	v_sub_f32_e32 v0, v0, v3
	v_mov_b32_e32 v91, v73
	v_sub_f32_e32 v7, v2, v3
	v_fmac_f32_e32 v91, 0x3f737871, v0
	v_sub_f32_e32 v1, v1, v2
	v_sub_f32_e32 v2, v78, v79
	;; [unrolled: 1-line block ×3, first 2 shown]
	v_fmac_f32_e32 v73, 0xbf737871, v0
	v_fmac_f32_e32 v91, 0x3f167918, v1
	v_add_f32_e32 v2, v2, v3
	v_fmac_f32_e32 v73, 0xbf167918, v1
	v_fmac_f32_e32 v91, 0x3e9e377a, v2
	;; [unrolled: 1-line block ×3, first 2 shown]
	v_add_f32_e32 v2, v78, v81
	v_fmac_f32_e32 v163, -0.5, v2
	v_mov_b32_e32 v77, v163
	v_fmac_f32_e32 v77, 0xbf737871, v1
	v_fmac_f32_e32 v163, 0x3f737871, v1
	;; [unrolled: 1-line block ×4, first 2 shown]
	v_add_f32_e32 v0, v156, v83
	v_mul_f32_e32 v222, v95, v229
	v_add_f32_e32 v0, v0, v85
	v_fmac_f32_e32 v222, v94, v228
	v_add_f32_e32 v0, v0, v87
	v_sub_f32_e32 v3, v80, v81
	v_add_f32_e32 v80, v0, v222
	v_add_f32_e32 v0, v85, v87
	v_sub_f32_e32 v2, v79, v78
	v_fma_f32 v78, -0.5, v0, v156
	v_add_f32_e32 v2, v2, v3
	v_sub_f32_e32 v0, v96, v93
	v_mov_b32_e32 v82, v78
	v_fmac_f32_e32 v77, 0x3e9e377a, v2
	v_fmac_f32_e32 v163, 0x3e9e377a, v2
	;; [unrolled: 1-line block ×3, first 2 shown]
	v_sub_f32_e32 v1, v98, v92
	v_sub_f32_e32 v2, v83, v85
	;; [unrolled: 1-line block ×3, first 2 shown]
	v_fmac_f32_e32 v78, 0x3f737871, v0
	v_fmac_f32_e32 v82, 0xbf167918, v1
	v_add_f32_e32 v2, v2, v3
	v_fmac_f32_e32 v78, 0x3f167918, v1
	v_fmac_f32_e32 v82, 0x3e9e377a, v2
	;; [unrolled: 1-line block ×3, first 2 shown]
	v_add_f32_e32 v2, v83, v222
	v_fma_f32 v84, -0.5, v2, v156
	v_mov_b32_e32 v86, v84
	v_fmac_f32_e32 v86, 0x3f737871, v1
	v_fmac_f32_e32 v84, 0xbf737871, v1
	;; [unrolled: 1-line block ×4, first 2 shown]
	v_add_f32_e32 v0, v157, v96
	v_add_f32_e32 v0, v0, v98
	;; [unrolled: 1-line block ×5, first 2 shown]
	v_sub_f32_e32 v2, v85, v83
	v_sub_f32_e32 v3, v87, v222
	v_fma_f32 v79, -0.5, v0, v157
	v_add_f32_e32 v2, v2, v3
	v_sub_f32_e32 v0, v83, v222
	v_mov_b32_e32 v83, v79
	v_fmac_f32_e32 v86, 0x3e9e377a, v2
	v_fmac_f32_e32 v84, 0x3e9e377a, v2
	v_fmac_f32_e32 v83, 0x3f737871, v0
	v_sub_f32_e32 v1, v85, v87
	v_sub_f32_e32 v2, v96, v98
	;; [unrolled: 1-line block ×3, first 2 shown]
	v_fmac_f32_e32 v79, 0xbf737871, v0
	v_fmac_f32_e32 v83, 0x3f167918, v1
	v_add_f32_e32 v2, v2, v3
	v_fmac_f32_e32 v79, 0xbf167918, v1
	v_fmac_f32_e32 v83, 0x3e9e377a, v2
	;; [unrolled: 1-line block ×3, first 2 shown]
	v_add_f32_e32 v2, v96, v93
	v_fma_f32 v85, -0.5, v2, v157
	v_mov_b32_e32 v87, v85
	v_fmac_f32_e32 v87, 0xbf737871, v1
	v_fmac_f32_e32 v85, 0x3f737871, v1
	;; [unrolled: 1-line block ×4, first 2 shown]
	v_add_f32_e32 v0, v158, v97
	v_mul_f32_e32 v221, v103, v231
	v_add_f32_e32 v0, v0, v99
	v_fmac_f32_e32 v221, v102, v230
	v_add_f32_e32 v0, v0, v220
	v_add_f32_e32 v94, v0, v221
	;; [unrolled: 1-line block ×3, first 2 shown]
	v_sub_f32_e32 v2, v98, v96
	v_sub_f32_e32 v3, v92, v93
	v_fma_f32 v92, -0.5, v0, v158
	v_add_f32_e32 v2, v2, v3
	v_sub_f32_e32 v0, v104, v101
	v_mov_b32_e32 v96, v92
	v_fmac_f32_e32 v87, 0x3e9e377a, v2
	v_fmac_f32_e32 v85, 0x3e9e377a, v2
	;; [unrolled: 1-line block ×3, first 2 shown]
	v_sub_f32_e32 v1, v106, v100
	v_sub_f32_e32 v2, v97, v99
	;; [unrolled: 1-line block ×3, first 2 shown]
	v_fmac_f32_e32 v92, 0x3f737871, v0
	v_fmac_f32_e32 v96, 0xbf167918, v1
	v_add_f32_e32 v2, v2, v3
	v_fmac_f32_e32 v92, 0x3f167918, v1
	v_fmac_f32_e32 v96, 0x3e9e377a, v2
	;; [unrolled: 1-line block ×3, first 2 shown]
	v_add_f32_e32 v2, v97, v221
	v_fma_f32 v158, -0.5, v2, v158
	v_mov_b32_e32 v98, v158
	v_fmac_f32_e32 v98, 0x3f737871, v1
	v_fmac_f32_e32 v158, 0xbf737871, v1
	;; [unrolled: 1-line block ×4, first 2 shown]
	v_add_f32_e32 v0, v159, v104
	v_add_f32_e32 v0, v0, v106
	;; [unrolled: 1-line block ×5, first 2 shown]
	v_sub_f32_e32 v2, v99, v97
	v_sub_f32_e32 v3, v220, v221
	v_fma_f32 v93, -0.5, v0, v159
	v_add_f32_e32 v2, v2, v3
	v_sub_f32_e32 v0, v97, v221
	v_mov_b32_e32 v97, v93
	v_fmac_f32_e32 v98, 0x3e9e377a, v2
	v_fmac_f32_e32 v158, 0x3e9e377a, v2
	;; [unrolled: 1-line block ×3, first 2 shown]
	v_sub_f32_e32 v1, v99, v220
	v_sub_f32_e32 v2, v104, v106
	;; [unrolled: 1-line block ×3, first 2 shown]
	v_fmac_f32_e32 v93, 0xbf737871, v0
	v_fmac_f32_e32 v97, 0x3f167918, v1
	v_add_f32_e32 v2, v2, v3
	v_fmac_f32_e32 v93, 0xbf167918, v1
	v_fmac_f32_e32 v97, 0x3e9e377a, v2
	;; [unrolled: 1-line block ×3, first 2 shown]
	v_add_f32_e32 v2, v104, v101
	v_fmac_f32_e32 v159, -0.5, v2
	v_mov_b32_e32 v99, v159
	v_fmac_f32_e32 v99, 0xbf737871, v1
	v_fmac_f32_e32 v159, 0x3f737871, v1
	;; [unrolled: 1-line block ×4, first 2 shown]
	v_add_f32_e32 v0, v152, v105
	v_add_f32_e32 v0, v0, v107
	;; [unrolled: 1-line block ×5, first 2 shown]
	v_sub_f32_e32 v2, v106, v104
	v_sub_f32_e32 v3, v100, v101
	v_fma_f32 v100, -0.5, v0, v152
	v_add_f32_e32 v2, v2, v3
	v_sub_f32_e32 v0, v164, v9
	v_mov_b32_e32 v104, v100
	v_fmac_f32_e32 v99, 0x3e9e377a, v2
	v_fmac_f32_e32 v159, 0x3e9e377a, v2
	;; [unrolled: 1-line block ×3, first 2 shown]
	v_sub_f32_e32 v1, v167, v218
	v_sub_f32_e32 v2, v105, v107
	;; [unrolled: 1-line block ×3, first 2 shown]
	v_fmac_f32_e32 v100, 0x3f737871, v0
	v_fmac_f32_e32 v104, 0xbf167918, v1
	v_add_f32_e32 v2, v2, v3
	v_fmac_f32_e32 v100, 0x3f167918, v1
	v_fmac_f32_e32 v104, 0x3e9e377a, v2
	;; [unrolled: 1-line block ×3, first 2 shown]
	v_add_f32_e32 v2, v105, v8
	v_fma_f32 v152, -0.5, v2, v152
	v_mov_b32_e32 v106, v152
	v_fmac_f32_e32 v106, 0x3f737871, v1
	v_fmac_f32_e32 v152, 0xbf737871, v1
	;; [unrolled: 1-line block ×4, first 2 shown]
	v_add_f32_e32 v0, v153, v164
	v_add_f32_e32 v0, v0, v167
	;; [unrolled: 1-line block ×5, first 2 shown]
	v_sub_f32_e32 v2, v107, v105
	v_sub_f32_e32 v3, v219, v8
	v_fma_f32 v101, -0.5, v0, v153
	v_add_f32_e32 v2, v2, v3
	v_sub_f32_e32 v0, v105, v8
	v_mov_b32_e32 v105, v101
	v_fmac_f32_e32 v106, 0x3e9e377a, v2
	v_fmac_f32_e32 v152, 0x3e9e377a, v2
	;; [unrolled: 1-line block ×3, first 2 shown]
	v_sub_f32_e32 v1, v107, v219
	v_sub_f32_e32 v2, v164, v167
	v_sub_f32_e32 v3, v9, v218
	v_fmac_f32_e32 v101, 0xbf737871, v0
	v_fmac_f32_e32 v105, 0x3f167918, v1
	v_add_f32_e32 v2, v2, v3
	v_fmac_f32_e32 v101, 0xbf167918, v1
	v_fmac_f32_e32 v105, 0x3e9e377a, v2
	;; [unrolled: 1-line block ×3, first 2 shown]
	v_add_f32_e32 v2, v164, v9
	v_fmac_f32_e32 v153, -0.5, v2
	v_mov_b32_e32 v107, v153
	v_fmac_f32_e32 v107, 0xbf737871, v1
	v_fmac_f32_e32 v153, 0x3f737871, v1
	;; [unrolled: 1-line block ×4, first 2 shown]
	s_barrier
	buffer_load_dword v0, off, s[24:27], 0 offset:144 ; 4-byte Folded Reload
	s_waitcnt vmcnt(0)
	ds_write2_b64 v0, v[154:155], v[216:217] offset1:5
	ds_write2_b64 v0, v[110:111], v[108:109] offset0:10 offset1:15
	ds_write_b64 v0, v[74:75] offset:160
	buffer_load_dword v0, off, s[24:27], 0 offset:120 ; 4-byte Folded Reload
	v_add_f32_e32 v6, v6, v7
	v_fmac_f32_e32 v76, 0x3e9e377a, v6
	v_fmac_f32_e32 v162, 0x3e9e377a, v6
	s_waitcnt vmcnt(0)
	ds_write2_b64 v0, v[88:89], v[90:91] offset1:5
	ds_write2_b64 v0, v[76:77], v[162:163] offset0:10 offset1:15
	ds_write_b64 v0, v[72:73] offset:160
	buffer_load_dword v0, off, s[24:27], 0 offset:108 ; 4-byte Folded Reload
	s_waitcnt vmcnt(0)
	ds_write2_b64 v0, v[80:81], v[82:83] offset1:5
	ds_write2_b64 v0, v[86:87], v[84:85] offset0:10 offset1:15
	ds_write_b64 v0, v[78:79] offset:160
	buffer_load_dword v0, off, s[24:27], 0 offset:112 ; 4-byte Folded Reload
	;; [unrolled: 5-line block ×3, first 2 shown]
	v_sub_f32_e32 v2, v167, v164
	v_sub_f32_e32 v3, v218, v9
	v_add_f32_e32 v2, v2, v3
	v_fmac_f32_e32 v107, 0x3e9e377a, v2
	v_fmac_f32_e32 v153, 0x3e9e377a, v2
	s_waitcnt vmcnt(0)
	ds_write2_b64 v0, v[102:103], v[104:105] offset1:5
	ds_write2_b64 v0, v[106:107], v[152:153] offset0:10 offset1:15
	ds_write_b64 v0, v[100:101] offset:160
	s_waitcnt lgkmcnt(0)
	s_barrier
	ds_read2_b64 v[80:83], v254 offset1:125
	ds_read2_b64 v[72:75], v247 offset0:116 offset1:241
	ds_read2_b64 v[0:3], v246 offset0:98 offset1:223
	;; [unrolled: 1-line block ×11, first 2 shown]
	ds_read_b64 v[16:17], v254 offset:24000
	s_waitcnt lgkmcnt(11)
	v_mul_f32_e32 v18, v181, v75
	v_fmac_f32_e32 v18, v180, v74
	v_mul_f32_e32 v19, v181, v74
	s_waitcnt lgkmcnt(10)
	v_mul_f32_e32 v74, v183, v1
	v_fmac_f32_e32 v74, v182, v0
	v_mul_f32_e32 v0, v183, v0
	v_fma_f32 v19, v180, v75, -v19
	v_fma_f32 v75, v182, v1, -v0
	s_waitcnt lgkmcnt(9)
	v_mul_f32_e32 v0, v185, v6
	v_fma_f32 v105, v184, v7, -v0
	s_waitcnt lgkmcnt(8)
	v_mul_f32_e32 v0, v187, v8
	v_fma_f32 v106, v186, v9, -v0
	s_waitcnt lgkmcnt(7)
	v_mul_f32_e32 v0, v173, v12
	v_fma_f32 v108, v172, v13, -v0
	v_mul_f32_e32 v0, v175, v2
	v_fma_f32 v110, v174, v3, -v0
	s_waitcnt lgkmcnt(6)
	v_mul_f32_e32 v111, v177, v85
	v_mul_f32_e32 v0, v177, v84
	v_fmac_f32_e32 v111, v176, v84
	v_fma_f32 v84, v176, v85, -v0
	v_mul_f32_e32 v0, v179, v10
	v_fma_f32 v152, v178, v11, -v0
	v_mul_f32_e32 v0, v21, v14
	v_fma_f32 v154, v20, v15, -v0
	s_waitcnt lgkmcnt(4)
	v_mul_f32_e32 v155, v23, v89
	v_mul_f32_e32 v0, v23, v88
	v_fmac_f32_e32 v155, v22, v88
	v_fma_f32 v88, v22, v89, -v0
	v_mul_f32_e32 v89, v169, v87
	v_mul_f32_e32 v0, v169, v86
	v_fmac_f32_e32 v89, v168, v86
	v_fma_f32 v86, v168, v87, -v0
	s_waitcnt lgkmcnt(3)
	v_mul_f32_e32 v23, v171, v93
	v_mul_f32_e32 v0, v171, v92
	v_fmac_f32_e32 v23, v170, v92
	v_fma_f32 v87, v170, v93, -v0
	s_waitcnt lgkmcnt(2)
	v_mul_f32_e32 v92, v29, v97
	v_mul_f32_e32 v0, v29, v96
	v_fmac_f32_e32 v92, v28, v96
	v_fma_f32 v93, v28, v97, -v0
	v_mul_f32_e32 v96, v31, v91
	v_mul_f32_e32 v0, v31, v90
	;; [unrolled: 1-line block ×3, first 2 shown]
	v_fmac_f32_e32 v96, v30, v90
	v_fma_f32 v90, v30, v91, -v0
	s_waitcnt lgkmcnt(1)
	v_mul_f32_e32 v91, v25, v101
	v_mul_f32_e32 v0, v25, v100
	v_fmac_f32_e32 v104, v184, v6
	v_fmac_f32_e32 v91, v24, v100
	v_fma_f32 v97, v24, v101, -v0
	v_mul_f32_e32 v100, v27, v95
	v_mul_f32_e32 v0, v27, v94
	;; [unrolled: 1-line block ×3, first 2 shown]
	v_fmac_f32_e32 v100, v26, v94
	v_fma_f32 v94, v26, v95, -v0
	v_mul_f32_e32 v95, v37, v99
	v_mul_f32_e32 v0, v37, v98
	v_add_f32_e32 v1, v74, v104
	v_mul_f32_e32 v7, v187, v9
	v_fmac_f32_e32 v109, v174, v2
	v_fmac_f32_e32 v95, v36, v98
	v_fma_f32 v98, v36, v99, -v0
	v_mul_f32_e32 v99, v39, v5
	v_fma_f32 v2, -0.5, v1, v80
	v_fmac_f32_e32 v7, v186, v8
	v_fmac_f32_e32 v99, v38, v4
	v_mul_f32_e32 v0, v39, v4
	v_sub_f32_e32 v1, v19, v106
	v_mov_b32_e32 v4, v2
	v_fma_f32 v101, v38, v5, -v0
	v_fmac_f32_e32 v4, 0xbf737871, v1
	v_sub_f32_e32 v3, v75, v105
	v_sub_f32_e32 v5, v18, v74
	;; [unrolled: 1-line block ×3, first 2 shown]
	v_fmac_f32_e32 v2, 0x3f737871, v1
	v_fmac_f32_e32 v4, 0xbf167918, v3
	v_add_f32_e32 v5, v5, v6
	v_fmac_f32_e32 v2, 0x3f167918, v3
	v_fmac_f32_e32 v4, 0x3e9e377a, v5
	;; [unrolled: 1-line block ×3, first 2 shown]
	v_add_f32_e32 v5, v18, v7
	v_mul_f32_e32 v156, v33, v103
	v_mul_f32_e32 v0, v33, v102
	v_fma_f32 v6, -0.5, v5, v80
	v_fmac_f32_e32 v156, v32, v102
	v_fma_f32 v102, v32, v103, -v0
	s_waitcnt lgkmcnt(0)
	v_mul_f32_e32 v0, v35, v16
	v_mov_b32_e32 v8, v6
	v_fma_f32 v157, v34, v17, -v0
	v_add_f32_e32 v0, v80, v18
	v_fmac_f32_e32 v8, 0x3f737871, v3
	v_sub_f32_e32 v5, v74, v18
	v_sub_f32_e32 v9, v104, v7
	v_fmac_f32_e32 v6, 0xbf737871, v3
	v_add_f32_e32 v3, v75, v105
	v_mul_f32_e32 v85, v179, v11
	v_add_f32_e32 v0, v0, v74
	v_fmac_f32_e32 v8, 0xbf167918, v1
	v_add_f32_e32 v5, v5, v9
	v_fmac_f32_e32 v6, 0x3f167918, v1
	v_fma_f32 v3, -0.5, v3, v81
	v_fmac_f32_e32 v85, v178, v10
	v_add_f32_e32 v0, v0, v104
	v_fmac_f32_e32 v8, 0x3e9e377a, v5
	v_fmac_f32_e32 v6, 0x3e9e377a, v5
	v_sub_f32_e32 v10, v18, v7
	v_mov_b32_e32 v5, v3
	v_add_f32_e32 v0, v0, v7
	v_fmac_f32_e32 v5, 0x3f737871, v10
	v_sub_f32_e32 v11, v74, v104
	v_sub_f32_e32 v7, v19, v75
	v_sub_f32_e32 v9, v106, v105
	v_fmac_f32_e32 v3, 0xbf737871, v10
	v_fmac_f32_e32 v5, 0x3f167918, v11
	v_add_f32_e32 v7, v7, v9
	v_fmac_f32_e32 v3, 0xbf167918, v11
	v_fmac_f32_e32 v5, 0x3e9e377a, v7
	;; [unrolled: 1-line block ×3, first 2 shown]
	v_add_f32_e32 v7, v19, v106
	v_fma_f32 v7, -0.5, v7, v81
	v_mul_f32_e32 v107, v173, v13
	v_mov_b32_e32 v9, v7
	v_fmac_f32_e32 v107, v172, v12
	v_fmac_f32_e32 v9, 0xbf737871, v11
	v_sub_f32_e32 v12, v75, v19
	v_sub_f32_e32 v13, v105, v106
	v_fmac_f32_e32 v7, 0x3f737871, v11
	v_fmac_f32_e32 v9, 0x3f167918, v10
	v_add_f32_e32 v12, v12, v13
	v_fmac_f32_e32 v7, 0xbf167918, v10
	v_add_f32_e32 v11, v109, v111
	v_mul_f32_e32 v153, v21, v15
	v_fmac_f32_e32 v9, 0x3e9e377a, v12
	v_fmac_f32_e32 v7, 0x3e9e377a, v12
	v_fma_f32 v12, -0.5, v11, v82
	v_fmac_f32_e32 v153, v20, v14
	v_mul_f32_e32 v103, v35, v17
	v_sub_f32_e32 v11, v108, v152
	v_mov_b32_e32 v14, v12
	v_fmac_f32_e32 v103, v34, v16
	v_fmac_f32_e32 v14, 0xbf737871, v11
	v_sub_f32_e32 v13, v110, v84
	v_sub_f32_e32 v15, v107, v109
	;; [unrolled: 1-line block ×3, first 2 shown]
	v_fmac_f32_e32 v12, 0x3f737871, v11
	v_fmac_f32_e32 v14, 0xbf167918, v13
	v_add_f32_e32 v15, v15, v16
	v_fmac_f32_e32 v12, 0x3f167918, v13
	v_fmac_f32_e32 v14, 0x3e9e377a, v15
	;; [unrolled: 1-line block ×3, first 2 shown]
	v_add_f32_e32 v15, v107, v85
	v_add_f32_e32 v10, v82, v107
	v_fma_f32 v82, -0.5, v15, v82
	v_mov_b32_e32 v16, v82
	v_fmac_f32_e32 v16, 0x3f737871, v13
	v_sub_f32_e32 v15, v109, v107
	v_sub_f32_e32 v17, v111, v85
	v_fmac_f32_e32 v82, 0xbf737871, v13
	v_add_f32_e32 v13, v110, v84
	v_fmac_f32_e32 v16, 0xbf167918, v11
	v_add_f32_e32 v15, v15, v17
	v_fmac_f32_e32 v82, 0x3f167918, v11
	v_fma_f32 v13, -0.5, v13, v83
	v_fmac_f32_e32 v16, 0x3e9e377a, v15
	v_fmac_f32_e32 v82, 0x3e9e377a, v15
	v_sub_f32_e32 v18, v107, v85
	v_mov_b32_e32 v15, v13
	v_add_f32_e32 v1, v81, v19
	v_fmac_f32_e32 v15, 0x3f737871, v18
	v_sub_f32_e32 v19, v109, v111
	v_sub_f32_e32 v17, v108, v110
	;; [unrolled: 1-line block ×3, first 2 shown]
	v_fmac_f32_e32 v13, 0xbf737871, v18
	v_fmac_f32_e32 v15, 0x3f167918, v19
	v_add_f32_e32 v17, v17, v20
	v_fmac_f32_e32 v13, 0xbf167918, v19
	v_fmac_f32_e32 v15, 0x3e9e377a, v17
	;; [unrolled: 1-line block ×3, first 2 shown]
	v_add_f32_e32 v17, v108, v152
	v_add_f32_e32 v11, v83, v108
	v_fmac_f32_e32 v83, -0.5, v17
	v_mov_b32_e32 v17, v83
	v_fmac_f32_e32 v17, 0xbf737871, v19
	v_sub_f32_e32 v20, v110, v108
	v_sub_f32_e32 v21, v84, v152
	v_fmac_f32_e32 v83, 0x3f737871, v19
	v_fmac_f32_e32 v17, 0x3f167918, v18
	v_add_f32_e32 v20, v20, v21
	v_fmac_f32_e32 v83, 0xbf167918, v18
	v_add_f32_e32 v19, v155, v89
	v_fmac_f32_e32 v17, 0x3e9e377a, v20
	v_fmac_f32_e32 v83, 0x3e9e377a, v20
	v_fma_f32 v20, -0.5, v19, v76
	v_sub_f32_e32 v19, v154, v87
	v_mov_b32_e32 v22, v20
	v_fmac_f32_e32 v22, 0xbf737871, v19
	v_sub_f32_e32 v21, v88, v86
	v_sub_f32_e32 v24, v153, v155
	;; [unrolled: 1-line block ×3, first 2 shown]
	v_fmac_f32_e32 v20, 0x3f737871, v19
	v_fmac_f32_e32 v22, 0xbf167918, v21
	v_add_f32_e32 v24, v24, v25
	v_fmac_f32_e32 v20, 0x3f167918, v21
	v_fmac_f32_e32 v22, 0x3e9e377a, v24
	v_fmac_f32_e32 v20, 0x3e9e377a, v24
	v_add_f32_e32 v24, v153, v23
	v_fma_f32 v24, -0.5, v24, v76
	v_add_f32_e32 v18, v76, v153
	v_mov_b32_e32 v26, v24
	v_add_f32_e32 v18, v18, v155
	v_fmac_f32_e32 v26, 0x3f737871, v21
	v_fmac_f32_e32 v24, 0xbf737871, v21
	v_add_f32_e32 v21, v88, v86
	v_add_f32_e32 v18, v18, v89
	v_sub_f32_e32 v25, v155, v153
	v_sub_f32_e32 v27, v89, v23
	v_fma_f32 v21, -0.5, v21, v77
	v_add_f32_e32 v18, v18, v23
	v_fmac_f32_e32 v26, 0xbf167918, v19
	v_add_f32_e32 v25, v25, v27
	v_fmac_f32_e32 v24, 0x3f167918, v19
	v_sub_f32_e32 v28, v153, v23
	v_mov_b32_e32 v23, v21
	v_fmac_f32_e32 v26, 0x3e9e377a, v25
	v_fmac_f32_e32 v24, 0x3e9e377a, v25
	;; [unrolled: 1-line block ×3, first 2 shown]
	v_sub_f32_e32 v29, v155, v89
	v_sub_f32_e32 v25, v154, v88
	;; [unrolled: 1-line block ×3, first 2 shown]
	v_fmac_f32_e32 v21, 0xbf737871, v28
	v_fmac_f32_e32 v23, 0x3f167918, v29
	v_add_f32_e32 v25, v25, v27
	v_fmac_f32_e32 v21, 0xbf167918, v29
	v_fmac_f32_e32 v23, 0x3e9e377a, v25
	;; [unrolled: 1-line block ×3, first 2 shown]
	v_add_f32_e32 v25, v154, v87
	v_fma_f32 v25, -0.5, v25, v77
	v_mov_b32_e32 v27, v25
	v_fmac_f32_e32 v27, 0xbf737871, v29
	v_sub_f32_e32 v30, v88, v154
	v_sub_f32_e32 v31, v86, v87
	v_fmac_f32_e32 v25, 0x3f737871, v29
	v_fmac_f32_e32 v27, 0x3f167918, v28
	v_add_f32_e32 v30, v30, v31
	v_fmac_f32_e32 v25, 0xbf167918, v28
	v_add_f32_e32 v29, v96, v91
	v_fmac_f32_e32 v27, 0x3e9e377a, v30
	v_fmac_f32_e32 v25, 0x3e9e377a, v30
	v_fma_f32 v30, -0.5, v29, v78
	v_sub_f32_e32 v29, v93, v94
	v_mov_b32_e32 v32, v30
	v_fmac_f32_e32 v32, 0xbf737871, v29
	v_sub_f32_e32 v31, v90, v97
	v_sub_f32_e32 v33, v92, v96
	;; [unrolled: 1-line block ×3, first 2 shown]
	v_fmac_f32_e32 v30, 0x3f737871, v29
	v_fmac_f32_e32 v32, 0xbf167918, v31
	v_add_f32_e32 v33, v33, v34
	v_fmac_f32_e32 v30, 0x3f167918, v31
	v_fmac_f32_e32 v32, 0x3e9e377a, v33
	;; [unrolled: 1-line block ×3, first 2 shown]
	v_add_f32_e32 v33, v92, v100
	v_add_f32_e32 v28, v78, v92
	v_fma_f32 v78, -0.5, v33, v78
	v_mov_b32_e32 v34, v78
	v_fmac_f32_e32 v34, 0x3f737871, v31
	v_sub_f32_e32 v33, v96, v92
	v_sub_f32_e32 v35, v91, v100
	v_fmac_f32_e32 v78, 0xbf737871, v31
	v_add_f32_e32 v31, v90, v97
	v_fmac_f32_e32 v34, 0xbf167918, v29
	v_add_f32_e32 v33, v33, v35
	v_fmac_f32_e32 v78, 0x3f167918, v29
	v_fma_f32 v31, -0.5, v31, v79
	v_fmac_f32_e32 v34, 0x3e9e377a, v33
	v_fmac_f32_e32 v78, 0x3e9e377a, v33
	v_sub_f32_e32 v36, v92, v100
	v_mov_b32_e32 v33, v31
	v_fmac_f32_e32 v33, 0x3f737871, v36
	v_sub_f32_e32 v37, v96, v91
	v_sub_f32_e32 v35, v93, v90
	;; [unrolled: 1-line block ×3, first 2 shown]
	v_fmac_f32_e32 v31, 0xbf737871, v36
	v_fmac_f32_e32 v33, 0x3f167918, v37
	v_add_f32_e32 v35, v35, v38
	v_fmac_f32_e32 v31, 0xbf167918, v37
	v_fmac_f32_e32 v33, 0x3e9e377a, v35
	;; [unrolled: 1-line block ×3, first 2 shown]
	v_add_f32_e32 v35, v93, v94
	v_add_f32_e32 v29, v79, v93
	v_fmac_f32_e32 v79, -0.5, v35
	v_mov_b32_e32 v35, v79
	v_fmac_f32_e32 v35, 0xbf737871, v37
	v_sub_f32_e32 v38, v90, v93
	v_sub_f32_e32 v39, v97, v94
	v_fmac_f32_e32 v79, 0x3f737871, v37
	v_fmac_f32_e32 v35, 0x3f167918, v36
	v_add_f32_e32 v38, v38, v39
	v_fmac_f32_e32 v79, 0xbf167918, v36
	v_add_f32_e32 v37, v99, v156
	v_fmac_f32_e32 v35, 0x3e9e377a, v38
	v_fmac_f32_e32 v79, 0x3e9e377a, v38
	v_fma_f32 v38, -0.5, v37, v72
	v_sub_f32_e32 v37, v98, v157
	v_mov_b32_e32 v74, v38
	v_add_f32_e32 v1, v1, v75
	v_fmac_f32_e32 v74, 0xbf737871, v37
	v_sub_f32_e32 v39, v101, v102
	v_sub_f32_e32 v75, v95, v99
	;; [unrolled: 1-line block ×3, first 2 shown]
	v_fmac_f32_e32 v38, 0x3f737871, v37
	v_fmac_f32_e32 v74, 0xbf167918, v39
	v_add_f32_e32 v75, v75, v76
	v_fmac_f32_e32 v38, 0x3f167918, v39
	v_fmac_f32_e32 v74, 0x3e9e377a, v75
	;; [unrolled: 1-line block ×3, first 2 shown]
	v_add_f32_e32 v75, v95, v103
	v_add_f32_e32 v36, v72, v95
	v_fma_f32 v72, -0.5, v75, v72
	v_mov_b32_e32 v76, v72
	v_add_f32_e32 v19, v77, v154
	v_fmac_f32_e32 v76, 0x3f737871, v39
	v_sub_f32_e32 v75, v99, v95
	v_sub_f32_e32 v77, v156, v103
	v_fmac_f32_e32 v72, 0xbf737871, v39
	v_add_f32_e32 v39, v101, v102
	v_fmac_f32_e32 v76, 0xbf167918, v37
	v_add_f32_e32 v75, v75, v77
	v_fmac_f32_e32 v72, 0x3f167918, v37
	v_fma_f32 v39, -0.5, v39, v73
	v_add_f32_e32 v11, v11, v110
	v_fmac_f32_e32 v76, 0x3e9e377a, v75
	v_fmac_f32_e32 v72, 0x3e9e377a, v75
	v_sub_f32_e32 v80, v95, v103
	v_mov_b32_e32 v75, v39
	v_add_f32_e32 v11, v11, v84
	v_fmac_f32_e32 v75, 0x3f737871, v80
	v_sub_f32_e32 v81, v99, v156
	v_sub_f32_e32 v77, v98, v101
	;; [unrolled: 1-line block ×3, first 2 shown]
	v_fmac_f32_e32 v39, 0xbf737871, v80
	v_fmac_f32_e32 v75, 0x3f167918, v81
	v_add_f32_e32 v77, v77, v84
	v_fmac_f32_e32 v39, 0xbf167918, v81
	v_fmac_f32_e32 v75, 0x3e9e377a, v77
	;; [unrolled: 1-line block ×3, first 2 shown]
	v_add_f32_e32 v77, v98, v157
	v_add_f32_e32 v37, v73, v98
	v_fmac_f32_e32 v73, -0.5, v77
	v_mov_b32_e32 v77, v73
	v_fmac_f32_e32 v77, 0xbf737871, v81
	v_fmac_f32_e32 v73, 0x3f737871, v81
	;; [unrolled: 1-line block ×4, first 2 shown]
	s_barrier
	buffer_load_dword v80, off, s[24:27], 0 offset:124 ; 4-byte Folded Reload
	v_add_f32_e32 v1, v1, v105
	v_add_f32_e32 v1, v1, v106
	s_waitcnt vmcnt(0)
	ds_write2_b64 v80, v[0:1], v[4:5] offset1:25
	ds_write2_b64 v80, v[8:9], v[6:7] offset0:50 offset1:75
	ds_write_b64 v80, v[2:3] offset:800
	buffer_load_dword v0, off, s[24:27], 0 offset:128 ; 4-byte Folded Reload
	v_add_f32_e32 v10, v10, v109
	v_add_f32_e32 v10, v10, v111
	;; [unrolled: 1-line block ×4, first 2 shown]
	s_waitcnt vmcnt(0)
	ds_write2_b64 v0, v[10:11], v[14:15] offset1:25
	ds_write2_b64 v0, v[16:17], v[82:83] offset0:50 offset1:75
	ds_write_b64 v0, v[12:13] offset:800
	buffer_load_dword v0, off, s[24:27], 0 offset:132 ; 4-byte Folded Reload
	v_add_f32_e32 v19, v19, v88
	v_add_f32_e32 v19, v19, v86
	;; [unrolled: 1-line block ×3, first 2 shown]
	s_waitcnt vmcnt(0)
	ds_write2_b64 v0, v[18:19], v[22:23] offset1:25
	ds_write2_b64 v0, v[26:27], v[24:25] offset0:50 offset1:75
	ds_write_b64 v0, v[20:21] offset:800
	buffer_load_dword v0, off, s[24:27], 0 offset:136 ; 4-byte Folded Reload
	v_add_f32_e32 v28, v28, v96
	v_add_f32_e32 v29, v29, v90
	;; [unrolled: 1-line block ×6, first 2 shown]
	s_waitcnt vmcnt(0)
	ds_write2_b64 v0, v[28:29], v[32:33] offset1:25
	ds_write2_b64 v0, v[34:35], v[78:79] offset0:50 offset1:75
	ds_write_b64 v0, v[30:31] offset:800
	buffer_load_dword v0, off, s[24:27], 0 offset:140 ; 4-byte Folded Reload
	v_add_f32_e32 v36, v36, v99
	v_add_f32_e32 v37, v37, v101
	v_sub_f32_e32 v84, v101, v98
	v_sub_f32_e32 v85, v102, v157
	v_add_f32_e32 v36, v36, v156
	v_add_f32_e32 v37, v37, v102
	;; [unrolled: 1-line block ×5, first 2 shown]
	v_fmac_f32_e32 v77, 0x3e9e377a, v84
	v_fmac_f32_e32 v73, 0x3e9e377a, v84
	s_waitcnt vmcnt(0)
	ds_write2_b64 v0, v[36:37], v[74:75] offset1:25
	ds_write2_b64 v0, v[76:77], v[72:73] offset0:50 offset1:75
	ds_write_b64 v0, v[38:39] offset:800
	s_waitcnt lgkmcnt(0)
	s_barrier
	ds_read2_b64 v[8:11], v254 offset1:125
	ds_read2_b64 v[0:3], v247 offset0:116 offset1:241
	ds_read2_b64 v[12:15], v246 offset0:98 offset1:223
	;; [unrolled: 1-line block ×11, first 2 shown]
	ds_read_b64 v[80:81], v254 offset:24000
	s_waitcnt lgkmcnt(11)
	v_mul_f32_e32 v82, v45, v3
	v_fmac_f32_e32 v82, v44, v2
	v_mul_f32_e32 v2, v45, v2
	v_fma_f32 v83, v44, v3, -v2
	s_waitcnt lgkmcnt(10)
	v_mul_f32_e32 v2, v47, v12
	v_fma_f32 v85, v46, v13, -v2
	s_waitcnt lgkmcnt(9)
	v_mul_f32_e32 v86, v41, v19
	v_mul_f32_e32 v2, v41, v18
	v_fmac_f32_e32 v86, v40, v18
	v_fma_f32 v18, v40, v19, -v2
	s_waitcnt lgkmcnt(8)
	v_mul_f32_e32 v19, v43, v21
	v_mul_f32_e32 v2, v43, v20
	v_fmac_f32_e32 v19, v42, v20
	v_fma_f32 v20, v42, v21, -v2
	s_waitcnt lgkmcnt(7)
	v_mul_f32_e32 v87, v45, v25
	v_mul_f32_e32 v2, v45, v24
	;; [unrolled: 1-line block ×3, first 2 shown]
	v_fmac_f32_e32 v87, v44, v24
	v_fma_f32 v44, v44, v25, -v2
	v_mul_f32_e32 v25, v47, v15
	v_mul_f32_e32 v2, v47, v14
	v_fmac_f32_e32 v84, v46, v12
	v_fmac_f32_e32 v25, v46, v14
	v_fma_f32 v45, v46, v15, -v2
	s_waitcnt lgkmcnt(6)
	v_mul_f32_e32 v46, v41, v29
	v_mul_f32_e32 v2, v41, v28
	v_fmac_f32_e32 v46, v40, v28
	v_fma_f32 v28, v40, v29, -v2
	v_mul_f32_e32 v2, v43, v22
	v_mul_f32_e32 v29, v43, v23
	v_fma_f32 v40, v42, v23, -v2
	v_mul_f32_e32 v2, v53, v26
	v_fmac_f32_e32 v29, v42, v22
	v_fma_f32 v42, v52, v27, -v2
	s_waitcnt lgkmcnt(4)
	v_mul_f32_e32 v2, v55, v32
	v_mul_f32_e32 v43, v55, v33
	v_fma_f32 v47, v54, v33, -v2
	v_mul_f32_e32 v33, v49, v31
	v_mul_f32_e32 v2, v49, v30
	v_fmac_f32_e32 v33, v48, v30
	v_fma_f32 v48, v48, v31, -v2
	s_waitcnt lgkmcnt(3)
	v_mul_f32_e32 v31, v51, v37
	v_mul_f32_e32 v2, v51, v36
	v_fmac_f32_e32 v31, v50, v36
	v_fma_f32 v36, v50, v37, -v2
	s_waitcnt lgkmcnt(2)
	v_mul_f32_e32 v2, v61, v72
	v_mul_f32_e32 v41, v53, v27
	v_fma_f32 v50, v60, v73, -v2
	v_mul_f32_e32 v2, v63, v34
	v_fmac_f32_e32 v41, v52, v26
	v_fma_f32 v52, v62, v35, -v2
	s_waitcnt lgkmcnt(1)
	v_mul_f32_e32 v2, v57, v76
	v_add_f32_e32 v3, v84, v86
	v_fmac_f32_e32 v43, v54, v32
	v_mul_f32_e32 v53, v57, v77
	v_fma_f32 v54, v56, v77, -v2
	v_mul_f32_e32 v2, v59, v38
	v_fma_f32 v12, -0.5, v3, v8
	v_fmac_f32_e32 v53, v56, v76
	v_mul_f32_e32 v55, v59, v39
	v_fma_f32 v56, v58, v39, -v2
	v_mul_f32_e32 v2, v69, v74
	v_mul_f32_e32 v59, v71, v17
	v_sub_f32_e32 v3, v83, v20
	v_mov_b32_e32 v14, v12
	v_mul_f32_e32 v49, v61, v73
	v_fmac_f32_e32 v55, v58, v38
	v_fma_f32 v58, v68, v75, -v2
	v_fmac_f32_e32 v59, v70, v16
	v_mul_f32_e32 v2, v71, v16
	v_fmac_f32_e32 v14, 0xbf737871, v3
	v_sub_f32_e32 v13, v85, v18
	v_sub_f32_e32 v15, v82, v84
	;; [unrolled: 1-line block ×3, first 2 shown]
	v_fmac_f32_e32 v12, 0x3f737871, v3
	v_fmac_f32_e32 v49, v60, v72
	v_mul_f32_e32 v51, v63, v35
	v_fma_f32 v60, v70, v17, -v2
	v_mul_f32_e32 v2, v65, v78
	v_fmac_f32_e32 v14, 0xbf167918, v13
	v_add_f32_e32 v15, v15, v16
	v_fmac_f32_e32 v12, 0x3f167918, v13
	v_fmac_f32_e32 v51, v62, v34
	v_mul_f32_e32 v61, v65, v79
	v_fma_f32 v62, v64, v79, -v2
	s_waitcnt lgkmcnt(0)
	v_mul_f32_e32 v2, v67, v80
	v_fmac_f32_e32 v14, 0x3e9e377a, v15
	v_fmac_f32_e32 v12, 0x3e9e377a, v15
	v_add_f32_e32 v15, v82, v19
	v_fmac_f32_e32 v61, v64, v78
	v_fma_f32 v64, v66, v81, -v2
	v_add_f32_e32 v2, v8, v82
	v_fma_f32 v8, -0.5, v15, v8
	v_mov_b32_e32 v16, v8
	v_add_f32_e32 v2, v2, v84
	v_fmac_f32_e32 v16, 0x3f737871, v13
	v_sub_f32_e32 v15, v84, v82
	v_sub_f32_e32 v17, v86, v19
	v_fmac_f32_e32 v8, 0xbf737871, v13
	v_add_f32_e32 v13, v85, v18
	v_add_f32_e32 v2, v2, v86
	v_fmac_f32_e32 v16, 0xbf167918, v3
	v_add_f32_e32 v15, v15, v17
	v_fmac_f32_e32 v8, 0x3f167918, v3
	v_fma_f32 v13, -0.5, v13, v9
	v_add_f32_e32 v2, v2, v19
	v_fmac_f32_e32 v16, 0x3e9e377a, v15
	v_fmac_f32_e32 v8, 0x3e9e377a, v15
	v_sub_f32_e32 v19, v82, v19
	v_mov_b32_e32 v15, v13
	v_fmac_f32_e32 v15, 0x3f737871, v19
	v_sub_f32_e32 v21, v84, v86
	v_sub_f32_e32 v17, v83, v85
	;; [unrolled: 1-line block ×3, first 2 shown]
	v_fmac_f32_e32 v13, 0xbf737871, v19
	v_fmac_f32_e32 v15, 0x3f167918, v21
	v_add_f32_e32 v17, v17, v22
	v_fmac_f32_e32 v13, 0xbf167918, v21
	v_fmac_f32_e32 v15, 0x3e9e377a, v17
	;; [unrolled: 1-line block ×3, first 2 shown]
	v_add_f32_e32 v17, v83, v20
	v_add_f32_e32 v3, v9, v83
	v_fma_f32 v9, -0.5, v17, v9
	v_mov_b32_e32 v17, v9
	v_add_f32_e32 v3, v3, v85
	v_fmac_f32_e32 v17, 0xbf737871, v21
	v_fmac_f32_e32 v9, 0x3f737871, v21
	v_add_f32_e32 v3, v3, v18
	v_fmac_f32_e32 v17, 0x3f167918, v19
	v_fmac_f32_e32 v9, 0xbf167918, v19
	v_add_f32_e32 v19, v25, v46
	v_add_f32_e32 v3, v3, v20
	v_sub_f32_e32 v22, v85, v83
	v_sub_f32_e32 v18, v18, v20
	v_fma_f32 v20, -0.5, v19, v10
	v_add_f32_e32 v18, v22, v18
	v_sub_f32_e32 v19, v44, v40
	v_mov_b32_e32 v22, v20
	v_fmac_f32_e32 v22, 0xbf737871, v19
	v_sub_f32_e32 v21, v45, v28
	v_sub_f32_e32 v23, v87, v25
	;; [unrolled: 1-line block ×3, first 2 shown]
	v_fmac_f32_e32 v20, 0x3f737871, v19
	v_fmac_f32_e32 v22, 0xbf167918, v21
	v_add_f32_e32 v23, v23, v24
	v_fmac_f32_e32 v20, 0x3f167918, v21
	v_fmac_f32_e32 v22, 0x3e9e377a, v23
	;; [unrolled: 1-line block ×3, first 2 shown]
	v_add_f32_e32 v23, v87, v29
	v_fmac_f32_e32 v17, 0x3e9e377a, v18
	v_fmac_f32_e32 v9, 0x3e9e377a, v18
	v_add_f32_e32 v18, v10, v87
	v_fma_f32 v10, -0.5, v23, v10
	v_mov_b32_e32 v24, v10
	v_fmac_f32_e32 v24, 0x3f737871, v21
	v_sub_f32_e32 v23, v25, v87
	v_sub_f32_e32 v26, v46, v29
	v_fmac_f32_e32 v10, 0xbf737871, v21
	v_add_f32_e32 v21, v45, v28
	v_add_f32_e32 v18, v18, v25
	v_fmac_f32_e32 v24, 0xbf167918, v19
	v_add_f32_e32 v23, v23, v26
	v_fmac_f32_e32 v10, 0x3f167918, v19
	v_fma_f32 v21, -0.5, v21, v11
	v_add_f32_e32 v18, v18, v46
	v_fmac_f32_e32 v24, 0x3e9e377a, v23
	v_fmac_f32_e32 v10, 0x3e9e377a, v23
	v_sub_f32_e32 v26, v87, v29
	v_mov_b32_e32 v23, v21
	v_add_f32_e32 v18, v18, v29
	v_fmac_f32_e32 v23, 0x3f737871, v26
	v_sub_f32_e32 v27, v25, v46
	v_sub_f32_e32 v25, v44, v45
	;; [unrolled: 1-line block ×3, first 2 shown]
	v_fmac_f32_e32 v21, 0xbf737871, v26
	v_fmac_f32_e32 v23, 0x3f167918, v27
	v_add_f32_e32 v25, v25, v29
	v_fmac_f32_e32 v21, 0xbf167918, v27
	v_fmac_f32_e32 v23, 0x3e9e377a, v25
	;; [unrolled: 1-line block ×3, first 2 shown]
	v_add_f32_e32 v25, v44, v40
	v_add_f32_e32 v19, v11, v44
	v_fmac_f32_e32 v11, -0.5, v25
	v_add_f32_e32 v19, v19, v45
	v_mov_b32_e32 v25, v11
	v_add_f32_e32 v19, v19, v28
	v_fmac_f32_e32 v25, 0xbf737871, v27
	v_sub_f32_e32 v29, v45, v44
	v_sub_f32_e32 v28, v28, v40
	v_fmac_f32_e32 v11, 0x3f737871, v27
	v_fmac_f32_e32 v25, 0x3f167918, v26
	v_add_f32_e32 v28, v29, v28
	v_fmac_f32_e32 v11, 0xbf167918, v26
	v_add_f32_e32 v19, v19, v40
	v_fmac_f32_e32 v25, 0x3e9e377a, v28
	v_fmac_f32_e32 v11, 0x3e9e377a, v28
	s_barrier
	ds_write2_b64 v254, v[2:3], v[14:15] offset1:125
	ds_write2_b64 v166, v[16:17], v[8:9] offset0:122 offset1:247
	ds_write2_b64 v247, v[12:13], v[18:19] offset0:116 offset1:241
	;; [unrolled: 1-line block ×4, first 2 shown]
	buffer_load_dword v2, off, s[24:27], 0 offset:168 ; 4-byte Folded Reload
	v_add_f32_e32 v27, v43, v33
	v_fma_f32 v28, -0.5, v27, v4
	v_sub_f32_e32 v27, v42, v36
	v_mov_b32_e32 v30, v28
	v_fmac_f32_e32 v30, 0xbf737871, v27
	v_sub_f32_e32 v29, v47, v48
	v_sub_f32_e32 v32, v41, v43
	;; [unrolled: 1-line block ×3, first 2 shown]
	v_fmac_f32_e32 v28, 0x3f737871, v27
	v_fmac_f32_e32 v30, 0xbf167918, v29
	v_add_f32_e32 v32, v32, v34
	v_fmac_f32_e32 v28, 0x3f167918, v29
	v_fmac_f32_e32 v30, 0x3e9e377a, v32
	;; [unrolled: 1-line block ×3, first 2 shown]
	v_add_f32_e32 v32, v41, v31
	v_add_f32_e32 v26, v4, v41
	v_fma_f32 v4, -0.5, v32, v4
	v_mov_b32_e32 v32, v4
	v_add_f32_e32 v26, v26, v43
	v_fmac_f32_e32 v32, 0x3f737871, v29
	v_sub_f32_e32 v34, v43, v41
	v_sub_f32_e32 v35, v33, v31
	v_fmac_f32_e32 v4, 0xbf737871, v29
	v_add_f32_e32 v29, v47, v48
	v_add_f32_e32 v26, v26, v33
	v_fmac_f32_e32 v32, 0xbf167918, v27
	v_add_f32_e32 v34, v34, v35
	v_fmac_f32_e32 v4, 0x3f167918, v27
	v_fma_f32 v29, -0.5, v29, v5
	v_add_f32_e32 v26, v26, v31
	v_fmac_f32_e32 v32, 0x3e9e377a, v34
	v_fmac_f32_e32 v4, 0x3e9e377a, v34
	v_add_f32_e32 v27, v5, v42
	v_sub_f32_e32 v34, v41, v31
	v_mov_b32_e32 v31, v29
	v_add_f32_e32 v27, v27, v47
	v_fmac_f32_e32 v31, 0x3f737871, v34
	v_sub_f32_e32 v35, v43, v33
	v_sub_f32_e32 v33, v42, v47
	;; [unrolled: 1-line block ×3, first 2 shown]
	v_add_f32_e32 v27, v27, v48
	v_fmac_f32_e32 v31, 0x3f167918, v35
	v_add_f32_e32 v33, v33, v37
	v_add_f32_e32 v27, v27, v36
	v_fmac_f32_e32 v31, 0x3e9e377a, v33
	v_fmac_f32_e32 v29, 0xbf737871, v34
	;; [unrolled: 1-line block ×4, first 2 shown]
	v_add_f32_e32 v33, v42, v36
	v_fma_f32 v5, -0.5, v33, v5
	v_mov_b32_e32 v33, v5
	v_fmac_f32_e32 v33, 0xbf737871, v35
	v_sub_f32_e32 v37, v47, v42
	v_sub_f32_e32 v36, v48, v36
	v_fmac_f32_e32 v5, 0x3f737871, v35
	v_fmac_f32_e32 v33, 0x3f167918, v34
	v_add_f32_e32 v36, v37, v36
	v_fmac_f32_e32 v5, 0xbf167918, v34
	v_fmac_f32_e32 v33, 0x3e9e377a, v36
	;; [unrolled: 1-line block ×3, first 2 shown]
	v_add_f32_e32 v35, v51, v53
	v_fma_f32 v36, -0.5, v35, v6
	v_sub_f32_e32 v35, v50, v56
	v_mov_b32_e32 v38, v36
	v_fmac_f32_e32 v38, 0xbf737871, v35
	v_sub_f32_e32 v37, v52, v54
	v_sub_f32_e32 v39, v49, v51
	;; [unrolled: 1-line block ×3, first 2 shown]
	v_fmac_f32_e32 v36, 0x3f737871, v35
	v_fmac_f32_e32 v38, 0xbf167918, v37
	v_add_f32_e32 v39, v39, v40
	v_fmac_f32_e32 v36, 0x3f167918, v37
	v_fmac_f32_e32 v38, 0x3e9e377a, v39
	v_fmac_f32_e32 v36, 0x3e9e377a, v39
	v_add_f32_e32 v39, v49, v55
	v_add_f32_e32 v34, v6, v49
	v_fma_f32 v6, -0.5, v39, v6
	v_mov_b32_e32 v40, v6
	v_fmac_f32_e32 v40, 0x3f737871, v37
	s_waitcnt vmcnt(0)
	ds_write2_b64 v2, v[26:27], v[30:31] offset0:98 offset1:223
	buffer_load_dword v2, off, s[24:27], 0 offset:176 ; 4-byte Folded Reload
	v_sub_f32_e32 v39, v51, v49
	v_sub_f32_e32 v41, v53, v55
	v_fmac_f32_e32 v6, 0xbf737871, v37
	v_add_f32_e32 v37, v52, v54
	v_fmac_f32_e32 v40, 0xbf167918, v35
	v_add_f32_e32 v39, v39, v41
	v_fmac_f32_e32 v6, 0x3f167918, v35
	v_fma_f32 v37, -0.5, v37, v7
	v_fmac_f32_e32 v40, 0x3e9e377a, v39
	v_fmac_f32_e32 v6, 0x3e9e377a, v39
	v_add_f32_e32 v35, v7, v50
	v_sub_f32_e32 v42, v49, v55
	v_mov_b32_e32 v39, v37
	v_add_f32_e32 v34, v34, v51
	v_add_f32_e32 v35, v35, v52
	v_fmac_f32_e32 v39, 0x3f737871, v42
	v_sub_f32_e32 v43, v51, v53
	v_sub_f32_e32 v41, v50, v52
	;; [unrolled: 1-line block ×3, first 2 shown]
	v_add_f32_e32 v34, v34, v53
	v_add_f32_e32 v35, v35, v54
	v_fmac_f32_e32 v39, 0x3f167918, v43
	v_add_f32_e32 v41, v41, v44
	v_add_f32_e32 v34, v34, v55
	;; [unrolled: 1-line block ×3, first 2 shown]
	v_fmac_f32_e32 v39, 0x3e9e377a, v41
	v_fmac_f32_e32 v37, 0xbf737871, v42
	;; [unrolled: 1-line block ×4, first 2 shown]
	v_add_f32_e32 v41, v50, v56
	v_fmac_f32_e32 v7, -0.5, v41
	v_mov_b32_e32 v41, v7
	v_fmac_f32_e32 v41, 0xbf737871, v43
	v_sub_f32_e32 v44, v52, v50
	v_sub_f32_e32 v45, v54, v56
	v_fmac_f32_e32 v7, 0x3f737871, v43
	v_fmac_f32_e32 v41, 0x3f167918, v42
	v_add_f32_e32 v44, v44, v45
	v_fmac_f32_e32 v7, 0xbf167918, v42
	v_fmac_f32_e32 v41, 0x3e9e377a, v44
	;; [unrolled: 1-line block ×3, first 2 shown]
	v_add_f32_e32 v43, v59, v61
	v_mul_f32_e32 v57, v69, v75
	v_mul_f32_e32 v63, v67, v81
	v_fma_f32 v44, -0.5, v43, v0
	v_fmac_f32_e32 v57, v68, v74
	v_fmac_f32_e32 v63, v66, v80
	v_sub_f32_e32 v43, v58, v64
	v_mov_b32_e32 v46, v44
	v_fmac_f32_e32 v46, 0xbf737871, v43
	v_sub_f32_e32 v45, v60, v62
	v_sub_f32_e32 v47, v57, v59
	v_sub_f32_e32 v48, v63, v61
	v_fmac_f32_e32 v44, 0x3f737871, v43
	v_fmac_f32_e32 v46, 0xbf167918, v45
	v_add_f32_e32 v47, v47, v48
	v_fmac_f32_e32 v44, 0x3f167918, v45
	v_fmac_f32_e32 v46, 0x3e9e377a, v47
	;; [unrolled: 1-line block ×3, first 2 shown]
	v_add_f32_e32 v47, v57, v63
	v_add_f32_e32 v42, v0, v57
	v_fma_f32 v0, -0.5, v47, v0
	v_mov_b32_e32 v48, v0
	v_fmac_f32_e32 v48, 0x3f737871, v45
	v_sub_f32_e32 v47, v59, v57
	v_sub_f32_e32 v49, v61, v63
	v_fmac_f32_e32 v0, 0xbf737871, v45
	v_add_f32_e32 v45, v60, v62
	v_fmac_f32_e32 v48, 0xbf167918, v43
	v_add_f32_e32 v47, v47, v49
	v_fmac_f32_e32 v0, 0x3f167918, v43
	v_fma_f32 v45, -0.5, v45, v1
	v_fmac_f32_e32 v48, 0x3e9e377a, v47
	v_fmac_f32_e32 v0, 0x3e9e377a, v47
	v_add_f32_e32 v43, v1, v58
	v_sub_f32_e32 v50, v57, v63
	v_mov_b32_e32 v47, v45
	v_add_f32_e32 v42, v42, v59
	v_add_f32_e32 v43, v43, v60
	s_waitcnt vmcnt(0)
	ds_write2_b64 v2, v[32:33], v[4:5] offset0:92 offset1:217
	buffer_load_dword v2, off, s[24:27], 0 offset:172 ; 4-byte Folded Reload
	v_fmac_f32_e32 v47, 0x3f737871, v50
	v_sub_f32_e32 v51, v59, v61
	v_sub_f32_e32 v49, v58, v60
	;; [unrolled: 1-line block ×3, first 2 shown]
	v_add_f32_e32 v42, v42, v61
	v_add_f32_e32 v43, v43, v62
	v_fmac_f32_e32 v47, 0x3f167918, v51
	v_add_f32_e32 v49, v49, v52
	v_add_f32_e32 v42, v42, v63
	;; [unrolled: 1-line block ×3, first 2 shown]
	v_fmac_f32_e32 v47, 0x3e9e377a, v49
	v_fmac_f32_e32 v45, 0xbf737871, v50
	;; [unrolled: 1-line block ×4, first 2 shown]
	v_add_f32_e32 v49, v58, v64
	v_fmac_f32_e32 v1, -0.5, v49
	v_mov_b32_e32 v49, v1
	v_fmac_f32_e32 v49, 0xbf737871, v51
	v_sub_f32_e32 v52, v60, v58
	v_sub_f32_e32 v53, v62, v64
	v_fmac_f32_e32 v1, 0x3f737871, v51
	v_fmac_f32_e32 v49, 0x3f167918, v50
	v_add_f32_e32 v52, v52, v53
	v_fmac_f32_e32 v1, 0xbf167918, v50
	v_fmac_f32_e32 v49, 0x3e9e377a, v52
	v_fmac_f32_e32 v1, 0x3e9e377a, v52
	s_waitcnt vmcnt(0)
	ds_write_b64 v2, v[28:29] offset:14000
	buffer_load_dword v2, off, s[24:27], 0 offset:180 ; 4-byte Folded Reload
	s_waitcnt vmcnt(0)
	ds_write2_b64 v2, v[34:35], v[38:39] offset0:83 offset1:208
	buffer_load_dword v2, off, s[24:27], 0 offset:188 ; 4-byte Folded Reload
	s_waitcnt vmcnt(0)
	ds_write2_b64 v2, v[40:41], v[6:7] offset0:77 offset1:202
	buffer_load_dword v2, off, s[24:27], 0 offset:184 ; 4-byte Folded Reload
	s_waitcnt vmcnt(0)
	ds_write_b64 v2, v[36:37] offset:19000
	buffer_load_dword v2, off, s[24:27], 0 offset:192 ; 4-byte Folded Reload
	s_waitcnt vmcnt(0)
	ds_write2_b64 v2, v[42:43], v[46:47] offset0:68 offset1:193
	buffer_load_dword v2, off, s[24:27], 0 offset:200 ; 4-byte Folded Reload
	s_waitcnt vmcnt(0)
	ds_write2_b64 v2, v[48:49], v[0:1] offset0:62 offset1:187
	buffer_load_dword v0, off, s[24:27], 0 offset:196 ; 4-byte Folded Reload
	s_waitcnt vmcnt(0)
	ds_write_b64 v0, v[44:45] offset:24000
	s_waitcnt lgkmcnt(0)
	s_barrier
	ds_read2_b64 v[8:11], v254 offset1:125
	ds_read2_b64 v[0:3], v247 offset0:116 offset1:241
	ds_read2_b64 v[12:15], v246 offset0:98 offset1:223
	;; [unrolled: 1-line block ×11, first 2 shown]
	ds_read_b64 v[48:49], v254 offset:24000
	s_waitcnt lgkmcnt(11)
	v_mul_f32_e32 v50, v117, v3
	v_fmac_f32_e32 v50, v116, v2
	v_mul_f32_e32 v2, v117, v2
	v_fma_f32 v51, v116, v3, -v2
	s_waitcnt lgkmcnt(10)
	v_mul_f32_e32 v2, v119, v12
	v_fma_f32 v53, v118, v13, -v2
	s_waitcnt lgkmcnt(9)
	v_mul_f32_e32 v54, v113, v19
	v_mul_f32_e32 v2, v113, v18
	v_fmac_f32_e32 v54, v112, v18
	v_fma_f32 v18, v112, v19, -v2
	s_waitcnt lgkmcnt(8)
	v_mul_f32_e32 v19, v115, v21
	v_mul_f32_e32 v2, v115, v20
	v_fmac_f32_e32 v19, v114, v20
	v_fma_f32 v20, v114, v21, -v2
	s_waitcnt lgkmcnt(7)
	v_mul_f32_e32 v2, v125, v24
	v_fma_f32 v56, v124, v25, -v2
	v_mul_f32_e32 v2, v127, v14
	v_fma_f32 v57, v126, v15, -v2
	s_waitcnt lgkmcnt(6)
	v_mul_f32_e32 v58, v121, v29
	v_mul_f32_e32 v2, v121, v28
	v_fmac_f32_e32 v58, v120, v28
	v_fma_f32 v28, v120, v29, -v2
	v_mul_f32_e32 v2, v123, v22
	v_fma_f32 v59, v122, v23, -v2
	v_mul_f32_e32 v2, v133, v26
	v_fma_f32 v61, v132, v27, -v2
	s_waitcnt lgkmcnt(4)
	v_mul_f32_e32 v2, v135, v32
	v_fma_f32 v63, v134, v33, -v2
	v_mul_f32_e32 v2, v129, v30
	v_mul_f32_e32 v62, v135, v33
	v_mul_f32_e32 v33, v129, v31
	v_fma_f32 v64, v128, v31, -v2
	s_waitcnt lgkmcnt(3)
	v_mul_f32_e32 v31, v131, v37
	v_mul_f32_e32 v2, v131, v36
	;; [unrolled: 1-line block ×3, first 2 shown]
	v_fmac_f32_e32 v31, v130, v36
	v_fma_f32 v36, v130, v37, -v2
	s_waitcnt lgkmcnt(2)
	v_mul_f32_e32 v2, v145, v40
	v_fmac_f32_e32 v52, v118, v12
	v_fma_f32 v66, v144, v41, -v2
	v_mul_f32_e32 v2, v147, v34
	v_fma_f32 v67, v146, v35, -v2
	s_waitcnt lgkmcnt(1)
	v_mul_f32_e32 v68, v137, v45
	v_mul_f32_e32 v2, v137, v44
	v_add_f32_e32 v3, v52, v54
	v_mul_f32_e32 v55, v125, v25
	v_mul_f32_e32 v25, v127, v15
	v_fmac_f32_e32 v68, v136, v44
	v_fma_f32 v44, v136, v45, -v2
	v_mul_f32_e32 v2, v139, v38
	v_fma_f32 v12, -0.5, v3, v8
	v_fmac_f32_e32 v25, v126, v14
	v_fma_f32 v69, v138, v39, -v2
	v_mul_f32_e32 v2, v149, v42
	v_mul_f32_e32 v72, v151, v17
	v_sub_f32_e32 v3, v51, v20
	v_mov_b32_e32 v14, v12
	v_fma_f32 v71, v148, v43, -v2
	v_fmac_f32_e32 v72, v150, v16
	v_mul_f32_e32 v2, v151, v16
	v_fmac_f32_e32 v14, 0xbf737871, v3
	v_sub_f32_e32 v13, v53, v18
	v_sub_f32_e32 v15, v50, v52
	;; [unrolled: 1-line block ×3, first 2 shown]
	v_fmac_f32_e32 v12, 0x3f737871, v3
	v_fma_f32 v73, v150, v17, -v2
	v_mul_f32_e32 v2, v141, v46
	v_fmac_f32_e32 v14, 0xbf167918, v13
	v_add_f32_e32 v15, v15, v16
	v_fmac_f32_e32 v12, 0x3f167918, v13
	v_fma_f32 v75, v140, v47, -v2
	s_waitcnt lgkmcnt(0)
	v_mul_f32_e32 v2, v143, v48
	v_fmac_f32_e32 v14, 0x3e9e377a, v15
	v_fmac_f32_e32 v12, 0x3e9e377a, v15
	v_add_f32_e32 v15, v50, v19
	v_fma_f32 v76, v142, v49, -v2
	v_add_f32_e32 v2, v8, v50
	v_fma_f32 v8, -0.5, v15, v8
	v_mov_b32_e32 v16, v8
	v_add_f32_e32 v2, v2, v52
	v_fmac_f32_e32 v16, 0x3f737871, v13
	v_sub_f32_e32 v15, v52, v50
	v_sub_f32_e32 v17, v54, v19
	v_fmac_f32_e32 v8, 0xbf737871, v13
	v_add_f32_e32 v13, v53, v18
	v_add_f32_e32 v2, v2, v54
	v_fmac_f32_e32 v16, 0xbf167918, v3
	v_add_f32_e32 v15, v15, v17
	v_fmac_f32_e32 v8, 0x3f167918, v3
	v_fma_f32 v13, -0.5, v13, v9
	v_mul_f32_e32 v29, v123, v23
	v_add_f32_e32 v2, v2, v19
	v_fmac_f32_e32 v16, 0x3e9e377a, v15
	v_fmac_f32_e32 v8, 0x3e9e377a, v15
	v_sub_f32_e32 v19, v50, v19
	v_mov_b32_e32 v15, v13
	v_fmac_f32_e32 v29, v122, v22
	v_fmac_f32_e32 v15, 0x3f737871, v19
	v_sub_f32_e32 v21, v52, v54
	v_sub_f32_e32 v17, v51, v53
	;; [unrolled: 1-line block ×3, first 2 shown]
	v_fmac_f32_e32 v13, 0xbf737871, v19
	v_fmac_f32_e32 v15, 0x3f167918, v21
	v_add_f32_e32 v17, v17, v22
	v_fmac_f32_e32 v13, 0xbf167918, v21
	v_fmac_f32_e32 v15, 0x3e9e377a, v17
	;; [unrolled: 1-line block ×3, first 2 shown]
	v_add_f32_e32 v17, v51, v20
	v_add_f32_e32 v3, v9, v51
	v_fma_f32 v9, -0.5, v17, v9
	v_mov_b32_e32 v17, v9
	v_add_f32_e32 v3, v3, v53
	v_fmac_f32_e32 v17, 0xbf737871, v21
	v_fmac_f32_e32 v9, 0x3f737871, v21
	v_add_f32_e32 v3, v3, v18
	v_fmac_f32_e32 v17, 0x3f167918, v19
	v_fmac_f32_e32 v9, 0xbf167918, v19
	v_add_f32_e32 v19, v25, v58
	v_add_f32_e32 v3, v3, v20
	v_sub_f32_e32 v22, v53, v51
	v_sub_f32_e32 v18, v18, v20
	v_fma_f32 v20, -0.5, v19, v10
	v_fmac_f32_e32 v55, v124, v24
	v_add_f32_e32 v18, v22, v18
	v_sub_f32_e32 v19, v56, v59
	v_mov_b32_e32 v22, v20
	v_fmac_f32_e32 v22, 0xbf737871, v19
	v_sub_f32_e32 v21, v57, v28
	v_sub_f32_e32 v23, v55, v25
	;; [unrolled: 1-line block ×3, first 2 shown]
	v_fmac_f32_e32 v20, 0x3f737871, v19
	v_fmac_f32_e32 v22, 0xbf167918, v21
	v_add_f32_e32 v23, v23, v24
	v_fmac_f32_e32 v20, 0x3f167918, v21
	v_fmac_f32_e32 v22, 0x3e9e377a, v23
	;; [unrolled: 1-line block ×3, first 2 shown]
	v_add_f32_e32 v23, v55, v29
	v_fmac_f32_e32 v17, 0x3e9e377a, v18
	v_fmac_f32_e32 v9, 0x3e9e377a, v18
	v_add_f32_e32 v18, v10, v55
	v_fma_f32 v10, -0.5, v23, v10
	v_mul_f32_e32 v60, v133, v27
	v_mov_b32_e32 v24, v10
	v_fmac_f32_e32 v60, v132, v26
	v_fmac_f32_e32 v24, 0x3f737871, v21
	v_sub_f32_e32 v23, v25, v55
	v_sub_f32_e32 v26, v58, v29
	v_fmac_f32_e32 v10, 0xbf737871, v21
	v_add_f32_e32 v21, v57, v28
	v_add_f32_e32 v18, v18, v25
	v_fmac_f32_e32 v24, 0xbf167918, v19
	v_add_f32_e32 v23, v23, v26
	v_fmac_f32_e32 v10, 0x3f167918, v19
	v_fma_f32 v21, -0.5, v21, v11
	v_add_f32_e32 v18, v18, v58
	v_fmac_f32_e32 v24, 0x3e9e377a, v23
	v_fmac_f32_e32 v10, 0x3e9e377a, v23
	v_sub_f32_e32 v26, v55, v29
	v_mov_b32_e32 v23, v21
	v_add_f32_e32 v18, v18, v29
	v_fmac_f32_e32 v23, 0x3f737871, v26
	v_sub_f32_e32 v27, v25, v58
	v_sub_f32_e32 v25, v56, v57
	;; [unrolled: 1-line block ×3, first 2 shown]
	v_fmac_f32_e32 v21, 0xbf737871, v26
	v_fmac_f32_e32 v23, 0x3f167918, v27
	v_add_f32_e32 v25, v25, v29
	v_fmac_f32_e32 v21, 0xbf167918, v27
	v_fmac_f32_e32 v23, 0x3e9e377a, v25
	;; [unrolled: 1-line block ×3, first 2 shown]
	v_add_f32_e32 v25, v56, v59
	v_add_f32_e32 v19, v11, v56
	v_fmac_f32_e32 v11, -0.5, v25
	v_add_f32_e32 v19, v19, v57
	v_mov_b32_e32 v25, v11
	v_fmac_f32_e32 v62, v134, v32
	v_fmac_f32_e32 v33, v128, v30
	v_add_f32_e32 v19, v19, v28
	v_fmac_f32_e32 v25, 0xbf737871, v27
	v_sub_f32_e32 v29, v57, v56
	v_sub_f32_e32 v28, v28, v59
	v_fmac_f32_e32 v11, 0x3f737871, v27
	v_fmac_f32_e32 v25, 0x3f167918, v26
	v_add_f32_e32 v28, v29, v28
	v_fmac_f32_e32 v11, 0xbf167918, v26
	v_add_f32_e32 v27, v62, v33
	v_fmac_f32_e32 v25, 0x3e9e377a, v28
	v_fmac_f32_e32 v11, 0x3e9e377a, v28
	v_fma_f32 v28, -0.5, v27, v4
	v_mul_f32_e32 v65, v145, v41
	v_mul_f32_e32 v41, v147, v35
	v_sub_f32_e32 v27, v61, v36
	v_mov_b32_e32 v30, v28
	v_fmac_f32_e32 v41, v146, v34
	v_fmac_f32_e32 v30, 0xbf737871, v27
	v_sub_f32_e32 v29, v63, v64
	v_sub_f32_e32 v32, v60, v62
	v_sub_f32_e32 v34, v31, v33
	v_fmac_f32_e32 v28, 0x3f737871, v27
	v_fmac_f32_e32 v30, 0xbf167918, v29
	v_add_f32_e32 v32, v32, v34
	v_fmac_f32_e32 v28, 0x3f167918, v29
	v_fmac_f32_e32 v30, 0x3e9e377a, v32
	v_fmac_f32_e32 v28, 0x3e9e377a, v32
	v_add_f32_e32 v32, v60, v31
	v_add_f32_e32 v26, v4, v60
	v_fma_f32 v4, -0.5, v32, v4
	v_mov_b32_e32 v32, v4
	v_add_f32_e32 v26, v26, v62
	v_fmac_f32_e32 v32, 0x3f737871, v29
	v_sub_f32_e32 v34, v62, v60
	v_sub_f32_e32 v35, v33, v31
	v_fmac_f32_e32 v4, 0xbf737871, v29
	v_add_f32_e32 v29, v63, v64
	v_add_f32_e32 v26, v26, v33
	v_fmac_f32_e32 v32, 0xbf167918, v27
	v_add_f32_e32 v34, v34, v35
	v_fmac_f32_e32 v4, 0x3f167918, v27
	v_fma_f32 v29, -0.5, v29, v5
	v_add_f32_e32 v26, v26, v31
	v_fmac_f32_e32 v32, 0x3e9e377a, v34
	v_fmac_f32_e32 v4, 0x3e9e377a, v34
	v_sub_f32_e32 v34, v60, v31
	v_mov_b32_e32 v31, v29
	v_fmac_f32_e32 v31, 0x3f737871, v34
	v_sub_f32_e32 v35, v62, v33
	v_sub_f32_e32 v33, v61, v63
	;; [unrolled: 1-line block ×3, first 2 shown]
	v_fmac_f32_e32 v29, 0xbf737871, v34
	v_fmac_f32_e32 v31, 0x3f167918, v35
	v_add_f32_e32 v33, v33, v37
	v_fmac_f32_e32 v29, 0xbf167918, v35
	v_add_f32_e32 v27, v5, v61
	v_fmac_f32_e32 v31, 0x3e9e377a, v33
	v_fmac_f32_e32 v29, 0x3e9e377a, v33
	v_add_f32_e32 v33, v61, v36
	v_add_f32_e32 v27, v27, v63
	v_fma_f32 v5, -0.5, v33, v5
	v_add_f32_e32 v27, v27, v64
	v_mov_b32_e32 v33, v5
	v_add_f32_e32 v27, v27, v36
	v_fmac_f32_e32 v33, 0xbf737871, v35
	v_sub_f32_e32 v37, v63, v61
	v_sub_f32_e32 v36, v64, v36
	v_fmac_f32_e32 v5, 0x3f737871, v35
	v_fmac_f32_e32 v33, 0x3f167918, v34
	v_add_f32_e32 v36, v37, v36
	v_fmac_f32_e32 v5, 0xbf167918, v34
	v_add_f32_e32 v35, v41, v68
	v_mul_f32_e32 v45, v139, v39
	v_fmac_f32_e32 v33, 0x3e9e377a, v36
	v_fmac_f32_e32 v5, 0x3e9e377a, v36
	v_fma_f32 v36, -0.5, v35, v6
	v_fmac_f32_e32 v65, v144, v40
	v_fmac_f32_e32 v45, v138, v38
	v_sub_f32_e32 v35, v66, v69
	v_mov_b32_e32 v38, v36
	v_fmac_f32_e32 v38, 0xbf737871, v35
	v_sub_f32_e32 v37, v67, v44
	v_sub_f32_e32 v39, v65, v41
	;; [unrolled: 1-line block ×3, first 2 shown]
	v_fmac_f32_e32 v36, 0x3f737871, v35
	v_fmac_f32_e32 v38, 0xbf167918, v37
	v_add_f32_e32 v39, v39, v40
	v_fmac_f32_e32 v36, 0x3f167918, v37
	v_fmac_f32_e32 v38, 0x3e9e377a, v39
	;; [unrolled: 1-line block ×3, first 2 shown]
	v_add_f32_e32 v39, v65, v45
	v_add_f32_e32 v34, v6, v65
	v_fma_f32 v6, -0.5, v39, v6
	v_mul_f32_e32 v70, v149, v43
	v_mov_b32_e32 v40, v6
	v_fmac_f32_e32 v70, v148, v42
	v_fmac_f32_e32 v40, 0x3f737871, v37
	v_sub_f32_e32 v39, v41, v65
	v_sub_f32_e32 v42, v68, v45
	v_fmac_f32_e32 v6, 0xbf737871, v37
	v_add_f32_e32 v37, v67, v44
	v_add_f32_e32 v34, v34, v41
	v_fmac_f32_e32 v40, 0xbf167918, v35
	v_add_f32_e32 v39, v39, v42
	v_fmac_f32_e32 v6, 0x3f167918, v35
	v_fma_f32 v37, -0.5, v37, v7
	v_add_f32_e32 v34, v34, v68
	v_fmac_f32_e32 v40, 0x3e9e377a, v39
	v_fmac_f32_e32 v6, 0x3e9e377a, v39
	v_sub_f32_e32 v42, v65, v45
	v_mov_b32_e32 v39, v37
	v_add_f32_e32 v34, v34, v45
	v_fmac_f32_e32 v39, 0x3f737871, v42
	v_sub_f32_e32 v43, v41, v68
	v_sub_f32_e32 v41, v66, v67
	;; [unrolled: 1-line block ×3, first 2 shown]
	v_fmac_f32_e32 v37, 0xbf737871, v42
	v_fmac_f32_e32 v39, 0x3f167918, v43
	v_add_f32_e32 v41, v41, v45
	v_fmac_f32_e32 v37, 0xbf167918, v43
	v_fmac_f32_e32 v39, 0x3e9e377a, v41
	;; [unrolled: 1-line block ×3, first 2 shown]
	v_add_f32_e32 v41, v66, v69
	v_add_f32_e32 v35, v7, v66
	v_fmac_f32_e32 v7, -0.5, v41
	v_mul_f32_e32 v74, v141, v47
	v_add_f32_e32 v35, v35, v67
	v_mov_b32_e32 v41, v7
	v_fmac_f32_e32 v74, v140, v46
	v_add_f32_e32 v35, v35, v44
	v_fmac_f32_e32 v41, 0xbf737871, v43
	v_sub_f32_e32 v45, v67, v66
	v_sub_f32_e32 v44, v44, v69
	v_fmac_f32_e32 v7, 0x3f737871, v43
	v_fmac_f32_e32 v41, 0x3f167918, v42
	v_add_f32_e32 v44, v45, v44
	v_fmac_f32_e32 v7, 0xbf167918, v42
	v_add_f32_e32 v43, v72, v74
	v_mul_f32_e32 v47, v143, v49
	v_fmac_f32_e32 v41, 0x3e9e377a, v44
	v_fmac_f32_e32 v7, 0x3e9e377a, v44
	v_fma_f32 v44, -0.5, v43, v0
	v_fmac_f32_e32 v47, v142, v48
	v_sub_f32_e32 v43, v71, v76
	v_mov_b32_e32 v46, v44
	v_fmac_f32_e32 v46, 0xbf737871, v43
	v_sub_f32_e32 v45, v73, v75
	v_sub_f32_e32 v48, v70, v72
	;; [unrolled: 1-line block ×3, first 2 shown]
	v_fmac_f32_e32 v44, 0x3f737871, v43
	v_fmac_f32_e32 v46, 0xbf167918, v45
	v_add_f32_e32 v48, v48, v49
	v_fmac_f32_e32 v44, 0x3f167918, v45
	v_fmac_f32_e32 v46, 0x3e9e377a, v48
	;; [unrolled: 1-line block ×3, first 2 shown]
	v_add_f32_e32 v48, v70, v47
	v_add_f32_e32 v42, v0, v70
	v_fma_f32 v0, -0.5, v48, v0
	v_mov_b32_e32 v48, v0
	v_add_f32_e32 v42, v42, v72
	v_fmac_f32_e32 v48, 0x3f737871, v45
	v_fmac_f32_e32 v0, 0xbf737871, v45
	v_add_f32_e32 v45, v73, v75
	v_add_f32_e32 v42, v42, v74
	v_sub_f32_e32 v49, v72, v70
	v_sub_f32_e32 v50, v74, v47
	v_fma_f32 v45, -0.5, v45, v1
	v_add_f32_e32 v42, v42, v47
	v_fmac_f32_e32 v48, 0xbf167918, v43
	v_add_f32_e32 v49, v49, v50
	v_fmac_f32_e32 v0, 0x3f167918, v43
	v_sub_f32_e32 v50, v70, v47
	v_mov_b32_e32 v47, v45
	v_fmac_f32_e32 v48, 0x3e9e377a, v49
	v_fmac_f32_e32 v0, 0x3e9e377a, v49
	;; [unrolled: 1-line block ×3, first 2 shown]
	v_sub_f32_e32 v51, v72, v74
	v_sub_f32_e32 v49, v71, v73
	;; [unrolled: 1-line block ×3, first 2 shown]
	v_fmac_f32_e32 v45, 0xbf737871, v50
	v_fmac_f32_e32 v47, 0x3f167918, v51
	v_add_f32_e32 v49, v49, v52
	v_fmac_f32_e32 v45, 0xbf167918, v51
	v_fmac_f32_e32 v47, 0x3e9e377a, v49
	;; [unrolled: 1-line block ×3, first 2 shown]
	v_add_f32_e32 v49, v71, v76
	v_add_f32_e32 v43, v1, v71
	v_fmac_f32_e32 v1, -0.5, v49
	v_mov_b32_e32 v49, v1
	v_add_f32_e32 v19, v19, v59
	v_add_f32_e32 v43, v43, v73
	v_fmac_f32_e32 v49, 0xbf737871, v51
	v_sub_f32_e32 v52, v73, v71
	v_sub_f32_e32 v53, v75, v76
	ds_write_b64 v254, v[14:15] offset:5000
	ds_write_b64 v254, v[16:17] offset:10000
	;; [unrolled: 1-line block ×4, first 2 shown]
	ds_write2_b64 v254, v[2:3], v[18:19] offset1:125
	ds_write2_b64 v165, v[22:23], v[30:31] offset0:110 offset1:235
	v_add_u32_e32 v2, 0x2800, v254
	v_add_f32_e32 v43, v43, v75
	v_fmac_f32_e32 v49, 0x3f167918, v50
	v_add_f32_e32 v52, v52, v53
	v_fmac_f32_e32 v1, 0x3f737871, v51
	ds_write2_b64 v2, v[24:25], v[32:33] offset0:95 offset1:220
	ds_write2_b64 v243, v[10:11], v[4:5] offset0:80 offset1:205
	v_add_u32_e32 v2, 0x5000, v254
	v_add_f32_e32 v35, v35, v69
	v_add_f32_e32 v43, v43, v76
	v_fmac_f32_e32 v49, 0x3e9e377a, v52
	v_fmac_f32_e32 v1, 0xbf167918, v50
	ds_write2_b64 v2, v[20:21], v[28:29] offset0:65 offset1:190
	ds_write2_b64 v166, v[26:27], v[34:35] offset0:122 offset1:247
	ds_write_b64 v254, v[42:43] offset:4000
	ds_write2_b64 v207, v[38:39], v[46:47] offset0:104 offset1:229
	v_add_u32_e32 v2, 0x3000, v254
	v_fmac_f32_e32 v1, 0x3e9e377a, v52
	ds_write2_b64 v2, v[40:41], v[48:49] offset0:89 offset1:214
	ds_write2_b64 v206, v[6:7], v[0:1] offset0:74 offset1:199
	v_add_u32_e32 v0, 0x5800, v254
	ds_write2_b64 v0, v[36:37], v[44:45] offset0:59 offset1:184
	s_waitcnt lgkmcnt(0)
	s_barrier
	ds_read2_b64 v[4:7], v254 offset1:125
	v_mov_b32_e32 v8, s13
	s_waitcnt lgkmcnt(0)
	v_mul_f32_e32 v0, v215, v5
	v_fmac_f32_e32 v0, v214, v4
	v_cvt_f64_f32_e32 v[0:1], v0
	v_mul_f64 v[0:1], v[0:1], s[2:3]
	v_cvt_f32_f64_e32 v0, v[0:1]
	v_mul_f32_e32 v1, v215, v4
	buffer_load_dword v4, off, s[24:27], 0 offset:104 ; 4-byte Folded Reload
	v_fma_f32 v1, v214, v5, -v1
	v_cvt_f64_f32_e32 v[1:2], v1
	v_mul_f64 v[1:2], v[1:2], s[2:3]
	v_cvt_f32_f64_e32 v1, v[1:2]
	s_waitcnt vmcnt(0)
	v_mad_u64_u32 v[2:3], s[4:5], s0, v4, 0
	v_mad_u64_u32 v[3:4], s[4:5], s1, v4, v[3:4]
	buffer_load_dword v4, off, s[24:27], 0 offset:88 ; 4-byte Folded Reload
	buffer_load_dword v5, off, s[24:27], 0 offset:92 ; 4-byte Folded Reload
	s_mul_i32 s4, s1, 0x1388
	v_lshlrev_b64 v[2:3], 3, v[2:3]
	s_mul_hi_u32 s5, s0, 0x1388
	s_add_i32 s4, s5, s4
	s_mul_i32 s5, s0, 0x1388
	s_mulk_i32 s1, 0xb5c8
	s_add_i32 s1, s6, s1
	s_mulk_i32 s0, 0xb5c8
	s_waitcnt vmcnt(0)
	v_lshlrev_b64 v[4:5], 3, v[4:5]
	v_add_co_u32_e32 v4, vcc, s12, v4
	v_addc_co_u32_e32 v5, vcc, v8, v5, vcc
	v_add_co_u32_e32 v4, vcc, v4, v2
	v_addc_co_u32_e32 v5, vcc, v5, v3, vcc
	global_store_dwordx2 v[4:5], v[0:1], off
	ds_read2_b64 v[0:3], v247 offset0:116 offset1:241
	s_waitcnt lgkmcnt(0)
	v_mul_f32_e32 v8, v213, v3
	v_fmac_f32_e32 v8, v212, v2
	v_mul_f32_e32 v2, v213, v2
	v_fma_f32 v2, v212, v3, -v2
	v_cvt_f64_f32_e32 v[8:9], v8
	v_cvt_f64_f32_e32 v[2:3], v2
	v_mul_f64 v[8:9], v[8:9], s[2:3]
	v_mul_f64 v[2:3], v[2:3], s[2:3]
	v_cvt_f32_f64_e32 v8, v[8:9]
	v_cvt_f32_f64_e32 v9, v[2:3]
	v_add_co_u32_e32 v2, vcc, s5, v4
	v_mov_b32_e32 v3, s4
	v_addc_co_u32_e32 v3, vcc, v5, v3, vcc
	global_store_dwordx2 v[2:3], v[8:9], off
	ds_read2_b64 v[8:11], v246 offset0:98 offset1:223
	s_waitcnt lgkmcnt(0)
	v_mul_f32_e32 v4, v211, v9
	v_fmac_f32_e32 v4, v210, v8
	v_cvt_f64_f32_e32 v[4:5], v4
	v_mul_f64 v[4:5], v[4:5], s[2:3]
	v_cvt_f32_f64_e32 v4, v[4:5]
	v_mul_f32_e32 v5, v211, v8
	v_fma_f32 v5, v210, v9, -v5
	v_cvt_f64_f32_e32 v[8:9], v5
	v_mul_f64 v[8:9], v[8:9], s[2:3]
	v_cvt_f32_f64_e32 v5, v[8:9]
	v_add_co_u32_e32 v8, vcc, s5, v2
	v_mov_b32_e32 v2, s4
	v_addc_co_u32_e32 v9, vcc, v3, v2, vcc
	global_store_dwordx2 v[8:9], v[4:5], off
	ds_read2_b64 v[2:5], v245 offset0:86 offset1:211
	s_waitcnt lgkmcnt(0)
	v_mul_f32_e32 v12, v209, v5
	v_fmac_f32_e32 v12, v208, v4
	v_mul_f32_e32 v4, v209, v4
	v_fma_f32 v4, v208, v5, -v4
	v_cvt_f64_f32_e32 v[12:13], v12
	v_cvt_f64_f32_e32 v[4:5], v4
	v_mul_f64 v[12:13], v[12:13], s[2:3]
	v_mul_f64 v[4:5], v[4:5], s[2:3]
	v_cvt_f32_f64_e32 v12, v[12:13]
	v_cvt_f32_f64_e32 v13, v[4:5]
	v_add_co_u32_e32 v4, vcc, s5, v8
	v_mov_b32_e32 v5, s4
	v_addc_co_u32_e32 v5, vcc, v9, v5, vcc
	global_store_dwordx2 v[4:5], v[12:13], off
	ds_read2_b64 v[12:15], v244 offset0:68 offset1:193
	v_add_co_u32_e32 v4, vcc, s5, v4
	s_waitcnt lgkmcnt(0)
	v_mul_f32_e32 v8, v205, v13
	v_fmac_f32_e32 v8, v204, v12
	v_cvt_f64_f32_e32 v[8:9], v8
	v_mul_f64 v[8:9], v[8:9], s[2:3]
	v_cvt_f32_f64_e32 v8, v[8:9]
	v_mul_f32_e32 v9, v205, v12
	v_fma_f32 v9, v204, v13, -v9
	v_cvt_f64_f32_e32 v[12:13], v9
	v_mul_f64 v[12:13], v[12:13], s[2:3]
	v_cvt_f32_f64_e32 v9, v[12:13]
	v_mov_b32_e32 v12, s4
	v_addc_co_u32_e32 v5, vcc, v5, v12, vcc
	global_store_dwordx2 v[4:5], v[8:9], off
	v_mul_f32_e32 v8, v203, v7
	v_fmac_f32_e32 v8, v202, v6
	v_mul_f32_e32 v6, v203, v6
	v_fma_f32 v6, v202, v7, -v6
	v_cvt_f64_f32_e32 v[8:9], v8
	v_cvt_f64_f32_e32 v[6:7], v6
	v_add_co_u32_e32 v12, vcc, s0, v4
	v_mul_f64 v[8:9], v[8:9], s[2:3]
	v_mul_f64 v[6:7], v[6:7], s[2:3]
	v_mov_b32_e32 v4, s1
	v_addc_co_u32_e32 v13, vcc, v5, v4, vcc
	v_cvt_f32_f64_e32 v8, v[8:9]
	v_cvt_f32_f64_e32 v9, v[6:7]
	ds_read2_b64 v[4:7], v165 offset0:110 offset1:235
	global_store_dwordx2 v[12:13], v[8:9], off
	s_waitcnt lgkmcnt(0)
	v_mul_f32_e32 v8, v201, v5
	v_fmac_f32_e32 v8, v200, v4
	v_mul_f32_e32 v4, v201, v4
	v_fma_f32 v4, v200, v5, -v4
	v_cvt_f64_f32_e32 v[8:9], v8
	v_cvt_f64_f32_e32 v[4:5], v4
	v_mul_f64 v[8:9], v[8:9], s[2:3]
	v_mul_f64 v[4:5], v[4:5], s[2:3]
	v_cvt_f32_f64_e32 v8, v[8:9]
	v_cvt_f32_f64_e32 v9, v[4:5]
	v_add_co_u32_e32 v4, vcc, s5, v12
	v_mov_b32_e32 v5, s4
	v_addc_co_u32_e32 v5, vcc, v13, v5, vcc
	global_store_dwordx2 v[4:5], v[8:9], off
	v_mul_f32_e32 v8, v199, v11
	v_fmac_f32_e32 v8, v198, v10
	v_cvt_f64_f32_e32 v[8:9], v8
	v_add_co_u32_e32 v4, vcc, s5, v4
	v_mul_f64 v[8:9], v[8:9], s[2:3]
	v_cvt_f32_f64_e32 v8, v[8:9]
	v_mul_f32_e32 v9, v199, v10
	v_fma_f32 v9, v198, v11, -v9
	v_cvt_f64_f32_e32 v[9:10], v9
	v_mul_f64 v[9:10], v[9:10], s[2:3]
	v_cvt_f32_f64_e32 v9, v[9:10]
	v_mov_b32_e32 v10, s4
	v_addc_co_u32_e32 v5, vcc, v5, v10, vcc
	global_store_dwordx2 v[4:5], v[8:9], off
	ds_read2_b64 v[8:11], v243 offset0:80 offset1:205
	v_add_co_u32_e32 v4, vcc, s5, v4
	s_waitcnt lgkmcnt(0)
	v_mul_f32_e32 v12, v195, v9
	v_fmac_f32_e32 v12, v194, v8
	v_mul_f32_e32 v8, v195, v8
	v_fma_f32 v8, v194, v9, -v8
	v_cvt_f64_f32_e32 v[12:13], v12
	v_cvt_f64_f32_e32 v[8:9], v8
	v_mul_f64 v[12:13], v[12:13], s[2:3]
	v_mul_f64 v[8:9], v[8:9], s[2:3]
	v_cvt_f32_f64_e32 v12, v[12:13]
	v_cvt_f32_f64_e32 v13, v[8:9]
	v_mov_b32_e32 v8, s4
	v_addc_co_u32_e32 v5, vcc, v5, v8, vcc
	v_mul_f32_e32 v8, v193, v15
	v_fmac_f32_e32 v8, v192, v14
	v_cvt_f64_f32_e32 v[8:9], v8
	global_store_dwordx2 v[4:5], v[12:13], off
	v_add_co_u32_e32 v4, vcc, s5, v4
	v_mul_f64 v[8:9], v[8:9], s[2:3]
	v_cvt_f32_f64_e32 v8, v[8:9]
	v_mul_f32_e32 v9, v193, v14
	v_fma_f32 v9, v192, v15, -v9
	v_cvt_f64_f32_e32 v[12:13], v9
	v_mul_f64 v[12:13], v[12:13], s[2:3]
	v_cvt_f32_f64_e32 v9, v[12:13]
	v_mov_b32_e32 v12, s4
	v_addc_co_u32_e32 v5, vcc, v5, v12, vcc
	ds_read2_b64 v[12:15], v166 offset0:122 offset1:247
	global_store_dwordx2 v[4:5], v[8:9], off
	v_add_co_u32_e32 v4, vcc, s0, v4
	s_waitcnt lgkmcnt(0)
	v_mul_f32_e32 v8, v197, v13
	v_fmac_f32_e32 v8, v196, v12
	v_cvt_f64_f32_e32 v[8:9], v8
	v_mul_f64 v[8:9], v[8:9], s[2:3]
	v_cvt_f32_f64_e32 v8, v[8:9]
	v_mul_f32_e32 v9, v197, v12
	v_fma_f32 v9, v196, v13, -v9
	v_cvt_f64_f32_e32 v[12:13], v9
	v_mul_f64 v[12:13], v[12:13], s[2:3]
	v_cvt_f32_f64_e32 v9, v[12:13]
	v_mov_b32_e32 v12, s1
	v_addc_co_u32_e32 v5, vcc, v5, v12, vcc
	global_store_dwordx2 v[4:5], v[8:9], off
	v_mul_f32_e32 v8, v191, v7
	v_fmac_f32_e32 v8, v190, v6
	v_mul_f32_e32 v6, v191, v6
	v_fma_f32 v6, v190, v7, -v6
	v_cvt_f64_f32_e32 v[8:9], v8
	v_cvt_f64_f32_e32 v[6:7], v6
	v_add_co_u32_e32 v12, vcc, s5, v4
	v_mul_f64 v[8:9], v[8:9], s[2:3]
	v_mul_f64 v[6:7], v[6:7], s[2:3]
	v_mov_b32_e32 v4, s4
	v_addc_co_u32_e32 v13, vcc, v5, v4, vcc
	v_cvt_f32_f64_e32 v8, v[8:9]
	v_cvt_f32_f64_e32 v9, v[6:7]
	ds_read2_b64 v[4:7], v242 offset0:92 offset1:217
	global_store_dwordx2 v[12:13], v[8:9], off
	s_waitcnt lgkmcnt(0)
	v_mul_f32_e32 v8, v189, v5
	v_fmac_f32_e32 v8, v188, v4
	v_mul_f32_e32 v4, v189, v4
	v_fma_f32 v4, v188, v5, -v4
	v_cvt_f64_f32_e32 v[8:9], v8
	v_cvt_f64_f32_e32 v[4:5], v4
	v_mul_f64 v[8:9], v[8:9], s[2:3]
	v_mul_f64 v[4:5], v[4:5], s[2:3]
	v_cvt_f32_f64_e32 v8, v[8:9]
	v_cvt_f32_f64_e32 v9, v[4:5]
	v_add_co_u32_e32 v4, vcc, s5, v12
	v_mov_b32_e32 v5, s4
	v_addc_co_u32_e32 v5, vcc, v13, v5, vcc
	global_store_dwordx2 v[4:5], v[8:9], off
	buffer_load_dword v12, off, s[24:27], 0 offset:64 ; 4-byte Folded Reload
	buffer_load_dword v13, off, s[24:27], 0 offset:68 ; 4-byte Folded Reload
	v_add_co_u32_e32 v4, vcc, s5, v4
	s_waitcnt vmcnt(0)
	v_mul_f32_e32 v8, v13, v11
	v_fmac_f32_e32 v8, v12, v10
	v_cvt_f64_f32_e32 v[8:9], v8
	v_mul_f64 v[8:9], v[8:9], s[2:3]
	v_cvt_f32_f64_e32 v8, v[8:9]
	v_mul_f32_e32 v9, v13, v10
	v_fma_f32 v9, v12, v11, -v9
	v_cvt_f64_f32_e32 v[9:10], v9
	v_mul_f64 v[9:10], v[9:10], s[2:3]
	v_cvt_f32_f64_e32 v9, v[9:10]
	v_mov_b32_e32 v10, s4
	v_addc_co_u32_e32 v5, vcc, v5, v10, vcc
	global_store_dwordx2 v[4:5], v[8:9], off
	ds_read2_b64 v[8:11], v255 offset0:62 offset1:187
	buffer_load_dword v16, off, s[24:27], 0 offset:48 ; 4-byte Folded Reload
	buffer_load_dword v17, off, s[24:27], 0 offset:52 ; 4-byte Folded Reload
	v_add_co_u32_e32 v4, vcc, s5, v4
	s_waitcnt vmcnt(0) lgkmcnt(0)
	v_mul_f32_e32 v12, v17, v9
	v_fmac_f32_e32 v12, v16, v8
	v_mul_f32_e32 v8, v17, v8
	v_fma_f32 v8, v16, v9, -v8
	v_cvt_f64_f32_e32 v[12:13], v12
	v_cvt_f64_f32_e32 v[8:9], v8
	v_mul_f64 v[12:13], v[12:13], s[2:3]
	v_mul_f64 v[8:9], v[8:9], s[2:3]
	v_cvt_f32_f64_e32 v12, v[12:13]
	v_cvt_f32_f64_e32 v13, v[8:9]
	v_mov_b32_e32 v8, s4
	v_addc_co_u32_e32 v5, vcc, v5, v8, vcc
	global_store_dwordx2 v[4:5], v[12:13], off
	buffer_load_dword v12, off, s[24:27], 0 offset:80 ; 4-byte Folded Reload
	s_nop 0
	buffer_load_dword v13, off, s[24:27], 0 offset:84 ; 4-byte Folded Reload
	v_add_co_u32_e32 v4, vcc, s0, v4
	s_waitcnt vmcnt(0)
	v_mul_f32_e32 v8, v13, v15
	v_fmac_f32_e32 v8, v12, v14
	v_cvt_f64_f32_e32 v[8:9], v8
	v_mul_f64 v[8:9], v[8:9], s[2:3]
	v_cvt_f32_f64_e32 v8, v[8:9]
	v_mul_f32_e32 v9, v13, v14
	v_fma_f32 v9, v12, v15, -v9
	v_cvt_f64_f32_e32 v[12:13], v9
	v_mul_f64 v[12:13], v[12:13], s[2:3]
	v_cvt_f32_f64_e32 v9, v[12:13]
	v_mov_b32_e32 v12, s1
	v_addc_co_u32_e32 v5, vcc, v5, v12, vcc
	global_store_dwordx2 v[4:5], v[8:9], off
	ds_read2_b64 v[12:15], v207 offset0:104 offset1:229
	buffer_load_dword v16, off, s[24:27], 0 offset:72 ; 4-byte Folded Reload
	buffer_load_dword v17, off, s[24:27], 0 offset:76 ; 4-byte Folded Reload
	v_add_co_u32_e32 v4, vcc, s5, v4
	s_waitcnt vmcnt(0) lgkmcnt(0)
	v_mul_f32_e32 v8, v17, v13
	v_fmac_f32_e32 v8, v16, v12
	v_cvt_f64_f32_e32 v[8:9], v8
	v_mul_f64 v[8:9], v[8:9], s[2:3]
	v_cvt_f32_f64_e32 v8, v[8:9]
	v_mul_f32_e32 v9, v17, v12
	v_fma_f32 v9, v16, v13, -v9
	v_cvt_f64_f32_e32 v[12:13], v9
	v_mul_f64 v[12:13], v[12:13], s[2:3]
	v_cvt_f32_f64_e32 v9, v[12:13]
	v_mov_b32_e32 v12, s4
	v_addc_co_u32_e32 v5, vcc, v5, v12, vcc
	global_store_dwordx2 v[4:5], v[8:9], off
	buffer_load_dword v12, off, s[24:27], 0 offset:56 ; 4-byte Folded Reload
	buffer_load_dword v13, off, s[24:27], 0 offset:60 ; 4-byte Folded Reload
	s_waitcnt vmcnt(0)
	v_mul_f32_e32 v8, v13, v7
	v_fmac_f32_e32 v8, v12, v6
	v_mul_f32_e32 v6, v13, v6
	v_fma_f32 v6, v12, v7, -v6
	v_cvt_f64_f32_e32 v[8:9], v8
	v_cvt_f64_f32_e32 v[6:7], v6
	v_add_co_u32_e32 v12, vcc, s5, v4
	v_mul_f64 v[8:9], v[8:9], s[2:3]
	v_mul_f64 v[6:7], v[6:7], s[2:3]
	v_mov_b32_e32 v4, s4
	v_addc_co_u32_e32 v13, vcc, v5, v4, vcc
	v_cvt_f32_f64_e32 v8, v[8:9]
	v_cvt_f32_f64_e32 v9, v[6:7]
	ds_read2_b64 v[4:7], v206 offset0:74 offset1:199
	global_store_dwordx2 v[12:13], v[8:9], off
	buffer_load_dword v16, off, s[24:27], 0 offset:40 ; 4-byte Folded Reload
	buffer_load_dword v17, off, s[24:27], 0 offset:44 ; 4-byte Folded Reload
	s_waitcnt vmcnt(0) lgkmcnt(0)
	v_mul_f32_e32 v8, v17, v5
	v_fmac_f32_e32 v8, v16, v4
	v_mul_f32_e32 v4, v17, v4
	v_fma_f32 v4, v16, v5, -v4
	v_cvt_f64_f32_e32 v[8:9], v8
	v_cvt_f64_f32_e32 v[4:5], v4
	v_mul_f64 v[8:9], v[8:9], s[2:3]
	v_mul_f64 v[4:5], v[4:5], s[2:3]
	v_cvt_f32_f64_e32 v8, v[8:9]
	v_cvt_f32_f64_e32 v9, v[4:5]
	v_add_co_u32_e32 v4, vcc, s5, v12
	v_mov_b32_e32 v5, s4
	v_addc_co_u32_e32 v5, vcc, v13, v5, vcc
	global_store_dwordx2 v[4:5], v[8:9], off
	buffer_load_dword v12, off, s[24:27], 0 offset:8 ; 4-byte Folded Reload
	buffer_load_dword v13, off, s[24:27], 0 offset:12 ; 4-byte Folded Reload
	v_add_co_u32_e32 v4, vcc, s5, v4
	s_waitcnt vmcnt(0)
	v_mul_f32_e32 v8, v13, v11
	v_fmac_f32_e32 v8, v12, v10
	v_cvt_f64_f32_e32 v[8:9], v8
	v_mul_f64 v[8:9], v[8:9], s[2:3]
	v_cvt_f32_f64_e32 v8, v[8:9]
	v_mul_f32_e32 v9, v13, v10
	v_fma_f32 v9, v12, v11, -v9
	v_cvt_f64_f32_e32 v[9:10], v9
	v_mul_f64 v[9:10], v[9:10], s[2:3]
	v_cvt_f32_f64_e32 v9, v[9:10]
	v_mov_b32_e32 v10, s4
	v_addc_co_u32_e32 v5, vcc, v5, v10, vcc
	global_store_dwordx2 v[4:5], v[8:9], off
	buffer_load_dword v9, off, s[24:27], 0  ; 4-byte Folded Reload
	s_nop 0
	buffer_load_dword v10, off, s[24:27], 0 offset:4 ; 4-byte Folded Reload
	s_waitcnt vmcnt(0)
	v_mul_f32_e32 v8, v10, v1
	v_mov_b32_e32 v11, v10
	v_fmac_f32_e32 v8, v9, v0
	v_mov_b32_e32 v10, v9
	v_mul_f32_e32 v0, v11, v0
	v_fma_f32 v0, v10, v1, -v0
	v_cvt_f64_f32_e32 v[8:9], v8
	v_cvt_f64_f32_e32 v[0:1], v0
	v_mul_f64 v[8:9], v[8:9], s[2:3]
	v_mul_f64 v[0:1], v[0:1], s[2:3]
	v_cvt_f32_f64_e32 v8, v[8:9]
	v_cvt_f32_f64_e32 v9, v[0:1]
	v_add_co_u32_e32 v0, vcc, s0, v4
	v_mov_b32_e32 v1, s1
	v_addc_co_u32_e32 v1, vcc, v5, v1, vcc
	global_store_dwordx2 v[0:1], v[8:9], off
	buffer_load_dword v8, off, s[24:27], 0 offset:32 ; 4-byte Folded Reload
	s_nop 0
	buffer_load_dword v9, off, s[24:27], 0 offset:36 ; 4-byte Folded Reload
	v_add_co_u32_e32 v0, vcc, s5, v0
	s_waitcnt vmcnt(0)
	v_mul_f32_e32 v4, v9, v15
	v_fmac_f32_e32 v4, v8, v14
	v_cvt_f64_f32_e32 v[4:5], v4
	v_mul_f64 v[4:5], v[4:5], s[2:3]
	v_cvt_f32_f64_e32 v4, v[4:5]
	v_mul_f32_e32 v5, v9, v14
	v_fma_f32 v5, v8, v15, -v5
	v_cvt_f64_f32_e32 v[8:9], v5
	v_mul_f64 v[8:9], v[8:9], s[2:3]
	v_cvt_f32_f64_e32 v5, v[8:9]
	v_mov_b32_e32 v8, s4
	v_addc_co_u32_e32 v1, vcc, v1, v8, vcc
	global_store_dwordx2 v[0:1], v[4:5], off
	buffer_load_dword v8, off, s[24:27], 0 offset:24 ; 4-byte Folded Reload
	buffer_load_dword v9, off, s[24:27], 0 offset:28 ; 4-byte Folded Reload
	v_add_co_u32_e32 v0, vcc, s5, v0
	s_waitcnt vmcnt(0)
	v_mul_f32_e32 v4, v9, v3
	v_fmac_f32_e32 v4, v8, v2
	v_mul_f32_e32 v2, v9, v2
	v_fma_f32 v2, v8, v3, -v2
	v_cvt_f64_f32_e32 v[4:5], v4
	v_cvt_f64_f32_e32 v[2:3], v2
	v_mul_f64 v[4:5], v[4:5], s[2:3]
	v_mul_f64 v[2:3], v[2:3], s[2:3]
	v_cvt_f32_f64_e32 v4, v[4:5]
	v_cvt_f32_f64_e32 v5, v[2:3]
	v_mov_b32_e32 v2, s4
	v_addc_co_u32_e32 v1, vcc, v1, v2, vcc
	global_store_dwordx2 v[0:1], v[4:5], off
	buffer_load_dword v3, off, s[24:27], 0 offset:16 ; 4-byte Folded Reload
	s_nop 0
	buffer_load_dword v4, off, s[24:27], 0 offset:20 ; 4-byte Folded Reload
	v_add_co_u32_e32 v0, vcc, s5, v0
	s_waitcnt vmcnt(0)
	v_mul_f32_e32 v2, v4, v7
	v_fmac_f32_e32 v2, v3, v6
	v_mov_b32_e32 v5, v4
	v_mov_b32_e32 v4, v3
	v_cvt_f64_f32_e32 v[2:3], v2
	v_mul_f64 v[2:3], v[2:3], s[2:3]
	v_cvt_f32_f64_e32 v2, v[2:3]
	v_mul_f32_e32 v3, v5, v6
	v_fma_f32 v3, v4, v7, -v3
	v_cvt_f64_f32_e32 v[3:4], v3
	v_mul_f64 v[3:4], v[3:4], s[2:3]
	v_cvt_f32_f64_e32 v3, v[3:4]
	v_mov_b32_e32 v4, s4
	v_addc_co_u32_e32 v1, vcc, v1, v4, vcc
	global_store_dwordx2 v[0:1], v[2:3], off
	ds_read_b64 v[2:3], v254 offset:24000
	buffer_load_dword v5, off, s[24:27], 0 offset:96 ; 4-byte Folded Reload
	buffer_load_dword v6, off, s[24:27], 0 offset:100 ; 4-byte Folded Reload
	v_add_co_u32_e32 v0, vcc, s5, v0
	s_waitcnt vmcnt(0) lgkmcnt(0)
	v_mul_f32_e32 v4, v6, v3
	v_mov_b32_e32 v7, v6
	v_fmac_f32_e32 v4, v5, v2
	v_mov_b32_e32 v6, v5
	v_mul_f32_e32 v2, v7, v2
	v_fma_f32 v2, v6, v3, -v2
	v_cvt_f64_f32_e32 v[4:5], v4
	v_cvt_f64_f32_e32 v[2:3], v2
	v_mul_f64 v[4:5], v[4:5], s[2:3]
	v_mul_f64 v[2:3], v[2:3], s[2:3]
	v_cvt_f32_f64_e32 v4, v[4:5]
	v_cvt_f32_f64_e32 v5, v[2:3]
	v_mov_b32_e32 v2, s4
	v_addc_co_u32_e32 v1, vcc, v1, v2, vcc
	global_store_dwordx2 v[0:1], v[4:5], off
.LBB0_2:
	s_endpgm
	.section	.rodata,"a",@progbits
	.p2align	6, 0x0
	.amdhsa_kernel bluestein_single_back_len3125_dim1_sp_op_CI_CI
		.amdhsa_group_segment_fixed_size 25000
		.amdhsa_private_segment_fixed_size 208
		.amdhsa_kernarg_size 104
		.amdhsa_user_sgpr_count 6
		.amdhsa_user_sgpr_private_segment_buffer 1
		.amdhsa_user_sgpr_dispatch_ptr 0
		.amdhsa_user_sgpr_queue_ptr 0
		.amdhsa_user_sgpr_kernarg_segment_ptr 1
		.amdhsa_user_sgpr_dispatch_id 0
		.amdhsa_user_sgpr_flat_scratch_init 0
		.amdhsa_user_sgpr_private_segment_size 0
		.amdhsa_uses_dynamic_stack 0
		.amdhsa_system_sgpr_private_segment_wavefront_offset 1
		.amdhsa_system_sgpr_workgroup_id_x 1
		.amdhsa_system_sgpr_workgroup_id_y 0
		.amdhsa_system_sgpr_workgroup_id_z 0
		.amdhsa_system_sgpr_workgroup_info 0
		.amdhsa_system_vgpr_workitem_id 0
		.amdhsa_next_free_vgpr 256
		.amdhsa_next_free_sgpr 28
		.amdhsa_reserve_vcc 1
		.amdhsa_reserve_flat_scratch 0
		.amdhsa_float_round_mode_32 0
		.amdhsa_float_round_mode_16_64 0
		.amdhsa_float_denorm_mode_32 3
		.amdhsa_float_denorm_mode_16_64 3
		.amdhsa_dx10_clamp 1
		.amdhsa_ieee_mode 1
		.amdhsa_fp16_overflow 0
		.amdhsa_exception_fp_ieee_invalid_op 0
		.amdhsa_exception_fp_denorm_src 0
		.amdhsa_exception_fp_ieee_div_zero 0
		.amdhsa_exception_fp_ieee_overflow 0
		.amdhsa_exception_fp_ieee_underflow 0
		.amdhsa_exception_fp_ieee_inexact 0
		.amdhsa_exception_int_div_zero 0
	.end_amdhsa_kernel
	.text
.Lfunc_end0:
	.size	bluestein_single_back_len3125_dim1_sp_op_CI_CI, .Lfunc_end0-bluestein_single_back_len3125_dim1_sp_op_CI_CI
                                        ; -- End function
	.section	.AMDGPU.csdata,"",@progbits
; Kernel info:
; codeLenInByte = 31216
; NumSgprs: 32
; NumVgprs: 256
; ScratchSize: 208
; MemoryBound: 0
; FloatMode: 240
; IeeeMode: 1
; LDSByteSize: 25000 bytes/workgroup (compile time only)
; SGPRBlocks: 3
; VGPRBlocks: 63
; NumSGPRsForWavesPerEU: 32
; NumVGPRsForWavesPerEU: 256
; Occupancy: 1
; WaveLimiterHint : 1
; COMPUTE_PGM_RSRC2:SCRATCH_EN: 1
; COMPUTE_PGM_RSRC2:USER_SGPR: 6
; COMPUTE_PGM_RSRC2:TRAP_HANDLER: 0
; COMPUTE_PGM_RSRC2:TGID_X_EN: 1
; COMPUTE_PGM_RSRC2:TGID_Y_EN: 0
; COMPUTE_PGM_RSRC2:TGID_Z_EN: 0
; COMPUTE_PGM_RSRC2:TIDIG_COMP_CNT: 0
	.type	__hip_cuid_2719ec84664b5579,@object ; @__hip_cuid_2719ec84664b5579
	.section	.bss,"aw",@nobits
	.globl	__hip_cuid_2719ec84664b5579
__hip_cuid_2719ec84664b5579:
	.byte	0                               ; 0x0
	.size	__hip_cuid_2719ec84664b5579, 1

	.ident	"AMD clang version 19.0.0git (https://github.com/RadeonOpenCompute/llvm-project roc-6.4.0 25133 c7fe45cf4b819c5991fe208aaa96edf142730f1d)"
	.section	".note.GNU-stack","",@progbits
	.addrsig
	.addrsig_sym __hip_cuid_2719ec84664b5579
	.amdgpu_metadata
---
amdhsa.kernels:
  - .args:
      - .actual_access:  read_only
        .address_space:  global
        .offset:         0
        .size:           8
        .value_kind:     global_buffer
      - .actual_access:  read_only
        .address_space:  global
        .offset:         8
        .size:           8
        .value_kind:     global_buffer
      - .actual_access:  read_only
        .address_space:  global
        .offset:         16
        .size:           8
        .value_kind:     global_buffer
      - .actual_access:  read_only
        .address_space:  global
        .offset:         24
        .size:           8
        .value_kind:     global_buffer
      - .actual_access:  read_only
        .address_space:  global
        .offset:         32
        .size:           8
        .value_kind:     global_buffer
      - .offset:         40
        .size:           8
        .value_kind:     by_value
      - .address_space:  global
        .offset:         48
        .size:           8
        .value_kind:     global_buffer
      - .address_space:  global
        .offset:         56
        .size:           8
        .value_kind:     global_buffer
      - .address_space:  global
        .offset:         64
        .size:           8
        .value_kind:     global_buffer
      - .address_space:  global
        .offset:         72
        .size:           8
        .value_kind:     global_buffer
      - .offset:         80
        .size:           4
        .value_kind:     by_value
      - .address_space:  global
        .offset:         88
        .size:           8
        .value_kind:     global_buffer
      - .address_space:  global
        .offset:         96
        .size:           8
        .value_kind:     global_buffer
    .group_segment_fixed_size: 25000
    .kernarg_segment_align: 8
    .kernarg_segment_size: 104
    .language:       OpenCL C
    .language_version:
      - 2
      - 0
    .max_flat_workgroup_size: 125
    .name:           bluestein_single_back_len3125_dim1_sp_op_CI_CI
    .private_segment_fixed_size: 208
    .sgpr_count:     32
    .sgpr_spill_count: 0
    .symbol:         bluestein_single_back_len3125_dim1_sp_op_CI_CI.kd
    .uniform_work_group_size: 1
    .uses_dynamic_stack: false
    .vgpr_count:     256
    .vgpr_spill_count: 51
    .wavefront_size: 64
amdhsa.target:   amdgcn-amd-amdhsa--gfx906
amdhsa.version:
  - 1
  - 2
...

	.end_amdgpu_metadata
